;; amdgpu-corpus repo=ROCm/rocFFT kind=compiled arch=gfx906 opt=O3
	.text
	.amdgcn_target "amdgcn-amd-amdhsa--gfx906"
	.amdhsa_code_object_version 6
	.protected	fft_rtc_fwd_len3600_factors_10_10_6_6_wgs_120_tpt_120_halfLds_sp_ip_CI_unitstride_sbrr_dirReg ; -- Begin function fft_rtc_fwd_len3600_factors_10_10_6_6_wgs_120_tpt_120_halfLds_sp_ip_CI_unitstride_sbrr_dirReg
	.globl	fft_rtc_fwd_len3600_factors_10_10_6_6_wgs_120_tpt_120_halfLds_sp_ip_CI_unitstride_sbrr_dirReg
	.p2align	8
	.type	fft_rtc_fwd_len3600_factors_10_10_6_6_wgs_120_tpt_120_halfLds_sp_ip_CI_unitstride_sbrr_dirReg,@function
fft_rtc_fwd_len3600_factors_10_10_6_6_wgs_120_tpt_120_halfLds_sp_ip_CI_unitstride_sbrr_dirReg: ; @fft_rtc_fwd_len3600_factors_10_10_6_6_wgs_120_tpt_120_halfLds_sp_ip_CI_unitstride_sbrr_dirReg
; %bb.0:
	s_load_dwordx2 s[2:3], s[4:5], 0x50
	s_load_dwordx4 s[8:11], s[4:5], 0x0
	s_load_dwordx2 s[12:13], s[4:5], 0x18
	v_mul_u32_u24_e32 v1, 0x223, v0
	v_add_u32_sdwa v5, s6, v1 dst_sel:DWORD dst_unused:UNUSED_PAD src0_sel:DWORD src1_sel:WORD_1
	v_mov_b32_e32 v3, 0
	s_waitcnt lgkmcnt(0)
	v_cmp_lt_u64_e64 s[0:1], s[10:11], 2
	v_mov_b32_e32 v1, 0
	v_mov_b32_e32 v6, v3
	s_and_b64 vcc, exec, s[0:1]
	v_mov_b32_e32 v2, 0
	s_cbranch_vccnz .LBB0_8
; %bb.1:
	s_load_dwordx2 s[0:1], s[4:5], 0x10
	s_add_u32 s6, s12, 8
	s_addc_u32 s7, s13, 0
	v_mov_b32_e32 v1, 0
	v_mov_b32_e32 v2, 0
	s_waitcnt lgkmcnt(0)
	s_add_u32 s14, s0, 8
	s_addc_u32 s15, s1, 0
	s_mov_b64 s[16:17], 1
.LBB0_2:                                ; =>This Inner Loop Header: Depth=1
	s_load_dwordx2 s[18:19], s[14:15], 0x0
                                        ; implicit-def: $vgpr7_vgpr8
	s_waitcnt lgkmcnt(0)
	v_or_b32_e32 v4, s19, v6
	v_cmp_ne_u64_e32 vcc, 0, v[3:4]
	s_and_saveexec_b64 s[0:1], vcc
	s_xor_b64 s[20:21], exec, s[0:1]
	s_cbranch_execz .LBB0_4
; %bb.3:                                ;   in Loop: Header=BB0_2 Depth=1
	v_cvt_f32_u32_e32 v4, s18
	v_cvt_f32_u32_e32 v7, s19
	s_sub_u32 s0, 0, s18
	s_subb_u32 s1, 0, s19
	v_mac_f32_e32 v4, 0x4f800000, v7
	v_rcp_f32_e32 v4, v4
	v_mul_f32_e32 v4, 0x5f7ffffc, v4
	v_mul_f32_e32 v7, 0x2f800000, v4
	v_trunc_f32_e32 v7, v7
	v_mac_f32_e32 v4, 0xcf800000, v7
	v_cvt_u32_f32_e32 v7, v7
	v_cvt_u32_f32_e32 v4, v4
	v_mul_lo_u32 v8, s0, v7
	v_mul_hi_u32 v9, s0, v4
	v_mul_lo_u32 v11, s1, v4
	v_mul_lo_u32 v10, s0, v4
	v_add_u32_e32 v8, v9, v8
	v_add_u32_e32 v8, v8, v11
	v_mul_hi_u32 v9, v4, v10
	v_mul_lo_u32 v11, v4, v8
	v_mul_hi_u32 v13, v4, v8
	v_mul_hi_u32 v12, v7, v10
	v_mul_lo_u32 v10, v7, v10
	v_mul_hi_u32 v14, v7, v8
	v_add_co_u32_e32 v9, vcc, v9, v11
	v_addc_co_u32_e32 v11, vcc, 0, v13, vcc
	v_mul_lo_u32 v8, v7, v8
	v_add_co_u32_e32 v9, vcc, v9, v10
	v_addc_co_u32_e32 v9, vcc, v11, v12, vcc
	v_addc_co_u32_e32 v10, vcc, 0, v14, vcc
	v_add_co_u32_e32 v8, vcc, v9, v8
	v_addc_co_u32_e32 v9, vcc, 0, v10, vcc
	v_add_co_u32_e32 v4, vcc, v4, v8
	v_addc_co_u32_e32 v7, vcc, v7, v9, vcc
	v_mul_lo_u32 v8, s0, v7
	v_mul_hi_u32 v9, s0, v4
	v_mul_lo_u32 v10, s1, v4
	v_mul_lo_u32 v11, s0, v4
	v_add_u32_e32 v8, v9, v8
	v_add_u32_e32 v8, v8, v10
	v_mul_lo_u32 v12, v4, v8
	v_mul_hi_u32 v13, v4, v11
	v_mul_hi_u32 v14, v4, v8
	;; [unrolled: 1-line block ×3, first 2 shown]
	v_mul_lo_u32 v11, v7, v11
	v_mul_hi_u32 v9, v7, v8
	v_add_co_u32_e32 v12, vcc, v13, v12
	v_addc_co_u32_e32 v13, vcc, 0, v14, vcc
	v_mul_lo_u32 v8, v7, v8
	v_add_co_u32_e32 v11, vcc, v12, v11
	v_addc_co_u32_e32 v10, vcc, v13, v10, vcc
	v_addc_co_u32_e32 v9, vcc, 0, v9, vcc
	v_add_co_u32_e32 v8, vcc, v10, v8
	v_addc_co_u32_e32 v9, vcc, 0, v9, vcc
	v_add_co_u32_e32 v4, vcc, v4, v8
	v_addc_co_u32_e32 v9, vcc, v7, v9, vcc
	v_mad_u64_u32 v[7:8], s[0:1], v5, v9, 0
	v_mul_hi_u32 v10, v5, v4
	v_add_co_u32_e32 v11, vcc, v10, v7
	v_addc_co_u32_e32 v12, vcc, 0, v8, vcc
	v_mad_u64_u32 v[7:8], s[0:1], v6, v4, 0
	v_mad_u64_u32 v[9:10], s[0:1], v6, v9, 0
	v_add_co_u32_e32 v4, vcc, v11, v7
	v_addc_co_u32_e32 v4, vcc, v12, v8, vcc
	v_addc_co_u32_e32 v7, vcc, 0, v10, vcc
	v_add_co_u32_e32 v4, vcc, v4, v9
	v_addc_co_u32_e32 v9, vcc, 0, v7, vcc
	v_mul_lo_u32 v10, s19, v4
	v_mul_lo_u32 v11, s18, v9
	v_mad_u64_u32 v[7:8], s[0:1], s18, v4, 0
	v_add3_u32 v8, v8, v11, v10
	v_sub_u32_e32 v10, v6, v8
	v_mov_b32_e32 v11, s19
	v_sub_co_u32_e32 v7, vcc, v5, v7
	v_subb_co_u32_e64 v10, s[0:1], v10, v11, vcc
	v_subrev_co_u32_e64 v11, s[0:1], s18, v7
	v_subbrev_co_u32_e64 v10, s[0:1], 0, v10, s[0:1]
	v_cmp_le_u32_e64 s[0:1], s19, v10
	v_cndmask_b32_e64 v12, 0, -1, s[0:1]
	v_cmp_le_u32_e64 s[0:1], s18, v11
	v_cndmask_b32_e64 v11, 0, -1, s[0:1]
	v_cmp_eq_u32_e64 s[0:1], s19, v10
	v_cndmask_b32_e64 v10, v12, v11, s[0:1]
	v_add_co_u32_e64 v11, s[0:1], 2, v4
	v_addc_co_u32_e64 v12, s[0:1], 0, v9, s[0:1]
	v_add_co_u32_e64 v13, s[0:1], 1, v4
	v_addc_co_u32_e64 v14, s[0:1], 0, v9, s[0:1]
	v_subb_co_u32_e32 v8, vcc, v6, v8, vcc
	v_cmp_ne_u32_e64 s[0:1], 0, v10
	v_cmp_le_u32_e32 vcc, s19, v8
	v_cndmask_b32_e64 v10, v14, v12, s[0:1]
	v_cndmask_b32_e64 v12, 0, -1, vcc
	v_cmp_le_u32_e32 vcc, s18, v7
	v_cndmask_b32_e64 v7, 0, -1, vcc
	v_cmp_eq_u32_e32 vcc, s19, v8
	v_cndmask_b32_e32 v7, v12, v7, vcc
	v_cmp_ne_u32_e32 vcc, 0, v7
	v_cndmask_b32_e64 v7, v13, v11, s[0:1]
	v_cndmask_b32_e32 v8, v9, v10, vcc
	v_cndmask_b32_e32 v7, v4, v7, vcc
.LBB0_4:                                ;   in Loop: Header=BB0_2 Depth=1
	s_andn2_saveexec_b64 s[0:1], s[20:21]
	s_cbranch_execz .LBB0_6
; %bb.5:                                ;   in Loop: Header=BB0_2 Depth=1
	v_cvt_f32_u32_e32 v4, s18
	s_sub_i32 s20, 0, s18
	v_rcp_iflag_f32_e32 v4, v4
	v_mul_f32_e32 v4, 0x4f7ffffe, v4
	v_cvt_u32_f32_e32 v4, v4
	v_mul_lo_u32 v7, s20, v4
	v_mul_hi_u32 v7, v4, v7
	v_add_u32_e32 v4, v4, v7
	v_mul_hi_u32 v4, v5, v4
	v_mul_lo_u32 v7, v4, s18
	v_add_u32_e32 v8, 1, v4
	v_sub_u32_e32 v7, v5, v7
	v_subrev_u32_e32 v9, s18, v7
	v_cmp_le_u32_e32 vcc, s18, v7
	v_cndmask_b32_e32 v7, v7, v9, vcc
	v_cndmask_b32_e32 v4, v4, v8, vcc
	v_add_u32_e32 v8, 1, v4
	v_cmp_le_u32_e32 vcc, s18, v7
	v_cndmask_b32_e32 v7, v4, v8, vcc
	v_mov_b32_e32 v8, v3
.LBB0_6:                                ;   in Loop: Header=BB0_2 Depth=1
	s_or_b64 exec, exec, s[0:1]
	v_mul_lo_u32 v4, v8, s18
	v_mul_lo_u32 v11, v7, s19
	v_mad_u64_u32 v[9:10], s[0:1], v7, s18, 0
	s_load_dwordx2 s[0:1], s[6:7], 0x0
	s_add_u32 s16, s16, 1
	v_add3_u32 v4, v10, v11, v4
	v_sub_co_u32_e32 v5, vcc, v5, v9
	v_subb_co_u32_e32 v4, vcc, v6, v4, vcc
	s_waitcnt lgkmcnt(0)
	v_mul_lo_u32 v4, s0, v4
	v_mul_lo_u32 v6, s1, v5
	v_mad_u64_u32 v[1:2], s[0:1], s0, v5, v[1:2]
	s_addc_u32 s17, s17, 0
	s_add_u32 s6, s6, 8
	v_add3_u32 v2, v6, v2, v4
	v_mov_b32_e32 v4, s10
	v_mov_b32_e32 v5, s11
	s_addc_u32 s7, s7, 0
	v_cmp_ge_u64_e32 vcc, s[16:17], v[4:5]
	s_add_u32 s14, s14, 8
	s_addc_u32 s15, s15, 0
	s_cbranch_vccnz .LBB0_9
; %bb.7:                                ;   in Loop: Header=BB0_2 Depth=1
	v_mov_b32_e32 v5, v7
	v_mov_b32_e32 v6, v8
	s_branch .LBB0_2
.LBB0_8:
	v_mov_b32_e32 v8, v6
	v_mov_b32_e32 v7, v5
.LBB0_9:
	s_lshl_b64 s[0:1], s[10:11], 3
	s_add_u32 s0, s12, s0
	s_addc_u32 s1, s13, s1
	s_load_dwordx2 s[6:7], s[0:1], 0x0
	s_load_dwordx2 s[10:11], s[4:5], 0x20
                                        ; implicit-def: $vgpr36
                                        ; implicit-def: $vgpr65
                                        ; implicit-def: $vgpr34
                                        ; implicit-def: $vgpr42
                                        ; implicit-def: $vgpr29
                                        ; implicit-def: $vgpr40
                                        ; implicit-def: $vgpr27
                                        ; implicit-def: $vgpr38
                                        ; implicit-def: $vgpr32
                                        ; implicit-def: $vgpr44
                                        ; implicit-def: $vgpr67
                                        ; implicit-def: $vgpr20
                                        ; implicit-def: $vgpr52
                                        ; implicit-def: $vgpr46
                                        ; implicit-def: $vgpr50
                                        ; implicit-def: $vgpr13
                                        ; implicit-def: $vgpr48
                                        ; implicit-def: $vgpr16
                                        ; implicit-def: $vgpr18
                                        ; implicit-def: $vgpr54
                                        ; implicit-def: $vgpr62
                                        ; implicit-def: $vgpr24
                                        ; implicit-def: $vgpr60
                                        ; implicit-def: $vgpr11
                                        ; implicit-def: $vgpr58
                                        ; implicit-def: $vgpr22
                                        ; implicit-def: $vgpr56
                                        ; implicit-def: $vgpr9
	s_waitcnt lgkmcnt(0)
	v_mad_u64_u32 v[1:2], s[0:1], s6, v7, v[1:2]
	v_mul_lo_u32 v3, s6, v8
	v_mul_lo_u32 v4, s7, v7
	s_mov_b32 s0, 0x2222223
	v_mul_hi_u32 v5, v0, s0
	v_cmp_gt_u64_e64 s[0:1], s[10:11], v[7:8]
	v_add3_u32 v2, v4, v2, v3
	v_lshlrev_b64 v[2:3], 3, v[1:2]
	v_mul_u32_u24_e32 v4, 0x78, v5
	v_sub_u32_e32 v0, v0, v4
                                        ; implicit-def: $vgpr5
                                        ; implicit-def: $vgpr7
	s_and_saveexec_b64 s[4:5], s[0:1]
	s_cbranch_execz .LBB0_11
; %bb.10:
	v_mov_b32_e32 v1, 0
	v_mov_b32_e32 v4, s3
	v_add_co_u32_e32 v8, vcc, s2, v2
	v_addc_co_u32_e32 v9, vcc, v4, v3, vcc
	v_lshlrev_b64 v[4:5], 3, v[0:1]
	s_movk_i32 s6, 0x1000
	v_add_co_u32_e32 v19, vcc, v8, v4
	v_addc_co_u32_e32 v20, vcc, v9, v5, vcc
	v_add_co_u32_e32 v23, vcc, s6, v19
	v_addc_co_u32_e32 v24, vcc, 0, v20, vcc
	s_movk_i32 s6, 0x2000
	v_add_co_u32_e32 v33, vcc, s6, v19
	v_addc_co_u32_e32 v34, vcc, 0, v20, vcc
	s_movk_i32 s6, 0x3000
	;; [unrolled: 3-line block ×5, first 2 shown]
	v_or_b32_e32 v4, 0x780, v0
	v_mov_b32_e32 v5, v1
	v_add_co_u32_e32 v72, vcc, s6, v19
	v_lshlrev_b64 v[4:5], 3, v[4:5]
	v_addc_co_u32_e32 v73, vcc, 0, v20, vcc
	v_add_co_u32_e32 v74, vcc, v8, v4
	global_load_dwordx2 v[6:7], v[19:20], off
	global_load_dwordx2 v[17:18], v[19:20], off offset:960
	global_load_dwordx2 v[15:16], v[19:20], off offset:3840
	v_addc_co_u32_e32 v75, vcc, v9, v5, vcc
	global_load_dwordx2 v[8:9], v[19:20], off offset:2880
	global_load_dwordx2 v[31:32], v[19:20], off offset:1920
	global_load_dwordx2 v[47:48], v[23:24], off offset:2624
	global_load_dwordx2 v[55:56], v[23:24], off offset:1664
	global_load_dwordx2 v[4:5], v[23:24], off offset:704
	global_load_dwordx2 v[26:27], v[33:34], off offset:2368
	global_load_dwordx2 v[37:38], v[23:24], off offset:3584
	global_load_dwordx2 v[12:13], v[33:34], off offset:1408
	global_load_dwordx2 v[21:22], v[33:34], off offset:448
	global_load_dwordx2 v[57:58], v[33:34], off offset:3328
	global_load_dwordx2 v[49:50], v[35:36], off offset:192
	global_load_dwordx2 v[10:11], v[35:36], off offset:2112
	global_load_dwordx2 v[39:40], v[35:36], off offset:1152
	global_load_dwordx2 v[41:42], v[68:69], off offset:2816
	global_load_dwordx2 v[28:29], v[35:36], off offset:4032
                                        ; kill: killed $vgpr23 killed $vgpr24
                                        ; kill: killed $vgpr35 killed $vgpr36
                                        ; kill: killed $vgpr33 killed $vgpr34
                                        ; kill: killed $vgpr19 killed $vgpr20
	global_load_dwordx2 v[51:52], v[68:69], off offset:1856
	global_load_dwordx2 v[59:60], v[68:69], off offset:896
	;; [unrolled: 1-line block ×10, first 2 shown]
	global_load_dwordx2 v[45:46], v[74:75], off
	global_load_dwordx2 v[35:36], v[72:73], off offset:3264
.LBB0_11:
	s_or_b64 exec, exec, s[4:5]
	s_waitcnt vmcnt(10)
	v_add_f32_e32 v14, v59, v57
	v_fma_f32 v14, -0.5, v14, v6
	s_waitcnt vmcnt(6)
	v_sub_f32_e32 v25, v56, v62
	v_mov_b32_e32 v30, v14
	v_fmac_f32_e32 v30, 0x3f737871, v25
	v_sub_f32_e32 v63, v58, v60
	v_sub_f32_e32 v68, v55, v57
	;; [unrolled: 1-line block ×3, first 2 shown]
	v_fmac_f32_e32 v14, 0xbf737871, v25
	v_fmac_f32_e32 v30, 0x3f167918, v63
	v_add_f32_e32 v68, v69, v68
	v_fmac_f32_e32 v14, 0xbf167918, v63
	v_fmac_f32_e32 v30, 0x3e9e377a, v68
	;; [unrolled: 1-line block ×3, first 2 shown]
	v_add_f32_e32 v68, v61, v55
	v_add_f32_e32 v1, v55, v6
	v_fmac_f32_e32 v6, -0.5, v68
	v_mov_b32_e32 v68, v6
	v_fmac_f32_e32 v68, 0xbf737871, v63
	v_fmac_f32_e32 v6, 0x3f737871, v63
	;; [unrolled: 1-line block ×4, first 2 shown]
	v_add_f32_e32 v25, v56, v7
	v_sub_f32_e32 v69, v57, v55
	v_sub_f32_e32 v70, v59, v61
	v_add_f32_e32 v25, v58, v25
	v_add_f32_e32 v69, v70, v69
	;; [unrolled: 1-line block ×3, first 2 shown]
	v_fmac_f32_e32 v68, 0x3e9e377a, v69
	v_fmac_f32_e32 v6, 0x3e9e377a, v69
	v_add_f32_e32 v69, v62, v25
	v_add_f32_e32 v25, v60, v58
	v_fma_f32 v70, -0.5, v25, v7
	v_add_f32_e32 v1, v57, v1
	v_sub_f32_e32 v25, v55, v61
	v_mov_b32_e32 v71, v70
	v_add_f32_e32 v1, v59, v1
	v_fmac_f32_e32 v71, 0xbf737871, v25
	v_sub_f32_e32 v55, v57, v59
	v_sub_f32_e32 v57, v56, v58
	;; [unrolled: 1-line block ×3, first 2 shown]
	v_fmac_f32_e32 v70, 0x3f737871, v25
	v_fmac_f32_e32 v71, 0xbf167918, v55
	v_add_f32_e32 v57, v59, v57
	v_fmac_f32_e32 v70, 0x3f167918, v55
	v_fmac_f32_e32 v71, 0x3e9e377a, v57
	;; [unrolled: 1-line block ×3, first 2 shown]
	v_add_f32_e32 v57, v62, v56
	v_fmac_f32_e32 v7, -0.5, v57
	v_mov_b32_e32 v72, v7
	v_fmac_f32_e32 v72, 0x3f737871, v55
	v_fmac_f32_e32 v7, 0xbf737871, v55
	v_fmac_f32_e32 v72, 0xbf167918, v25
	v_fmac_f32_e32 v7, 0x3f167918, v25
	v_add_f32_e32 v25, v21, v8
	v_add_f32_e32 v25, v10, v25
	v_sub_f32_e32 v56, v58, v56
	v_sub_f32_e32 v57, v60, v62
	v_add_f32_e32 v25, v23, v25
	v_add_f32_e32 v56, v57, v56
	s_waitcnt vmcnt(3)
	v_add_f32_e32 v57, v53, v25
	v_add_f32_e32 v25, v23, v10
	v_fma_f32 v58, -0.5, v25, v8
	v_sub_f32_e32 v25, v22, v54
	v_mov_b32_e32 v59, v58
	v_fmac_f32_e32 v72, 0x3e9e377a, v56
	v_fmac_f32_e32 v7, 0x3e9e377a, v56
	;; [unrolled: 1-line block ×3, first 2 shown]
	v_sub_f32_e32 v55, v11, v24
	v_sub_f32_e32 v56, v21, v10
	;; [unrolled: 1-line block ×3, first 2 shown]
	v_fmac_f32_e32 v58, 0xbf737871, v25
	v_fmac_f32_e32 v59, 0x3f167918, v55
	v_add_f32_e32 v56, v60, v56
	v_fmac_f32_e32 v58, 0xbf167918, v55
	v_fmac_f32_e32 v59, 0x3e9e377a, v56
	;; [unrolled: 1-line block ×3, first 2 shown]
	v_add_f32_e32 v56, v53, v21
	v_fmac_f32_e32 v8, -0.5, v56
	v_mov_b32_e32 v60, v8
	v_fmac_f32_e32 v60, 0xbf737871, v55
	v_fmac_f32_e32 v8, 0x3f737871, v55
	;; [unrolled: 1-line block ×4, first 2 shown]
	v_add_f32_e32 v25, v22, v9
	v_add_f32_e32 v25, v11, v25
	;; [unrolled: 1-line block ×4, first 2 shown]
	v_sub_f32_e32 v56, v10, v21
	v_sub_f32_e32 v61, v23, v53
	v_add_f32_e32 v73, v54, v25
	v_add_f32_e32 v25, v24, v11
	;; [unrolled: 1-line block ×3, first 2 shown]
	v_fma_f32 v61, -0.5, v25, v9
	v_sub_f32_e32 v21, v21, v53
	v_mov_b32_e32 v25, v61
	v_fmac_f32_e32 v25, 0xbf737871, v21
	v_sub_f32_e32 v10, v10, v23
	v_sub_f32_e32 v23, v22, v11
	;; [unrolled: 1-line block ×3, first 2 shown]
	v_fmac_f32_e32 v61, 0x3f737871, v21
	v_fmac_f32_e32 v25, 0xbf167918, v10
	v_add_f32_e32 v23, v53, v23
	v_fmac_f32_e32 v61, 0x3f167918, v10
	v_fmac_f32_e32 v25, 0x3e9e377a, v23
	;; [unrolled: 1-line block ×3, first 2 shown]
	v_add_f32_e32 v23, v54, v22
	v_fmac_f32_e32 v9, -0.5, v23
	v_mov_b32_e32 v53, v9
	v_sub_f32_e32 v11, v11, v22
	v_sub_f32_e32 v22, v24, v54
	v_fmac_f32_e32 v9, 0xbf737871, v10
	v_fmac_f32_e32 v8, 0x3e9e377a, v56
	v_fmac_f32_e32 v53, 0x3f737871, v10
	v_add_f32_e32 v11, v22, v11
	v_fmac_f32_e32 v9, 0x3f167918, v21
	s_mov_b32 s4, 0x3f737871
	s_mov_b32 s7, 0x3f167918
	v_fmac_f32_e32 v60, 0x3e9e377a, v56
	v_fmac_f32_e32 v53, 0xbf167918, v21
	v_fmac_f32_e32 v9, 0x3e9e377a, v11
	v_mul_f32_e32 v21, 0x3e9e377a, v8
	v_mul_f32_e32 v22, 0x3f4f1bbd, v58
	s_mov_b32 s6, 0xbf737871
	v_fmac_f32_e32 v53, 0x3e9e377a, v11
	v_mul_f32_e32 v11, 0x3e9e377a, v60
	v_fma_f32 v21, v9, s4, -v21
	v_fma_f32 v74, v61, s7, -v22
	v_mul_f32_e32 v76, 0xbf737871, v60
	v_mul_f32_e32 v9, 0x3e9e377a, v9
	;; [unrolled: 1-line block ×3, first 2 shown]
	v_fmac_f32_e32 v11, 0x3f737871, v53
	v_add_f32_e32 v56, v14, v74
	v_fmac_f32_e32 v76, 0x3e9e377a, v53
	v_fma_f32 v53, v8, s6, -v9
	v_mul_f32_e32 v8, 0x3f4f1bbd, v61
	v_sub_f32_e32 v61, v14, v74
	v_add_f32_e32 v14, v51, v49
	s_mov_b32 s5, 0xbf167918
	v_fmac_f32_e32 v10, 0x3f167918, v25
	v_add_f32_e32 v63, v6, v21
	v_sub_f32_e32 v60, v6, v21
	v_fma_f32 v21, -0.5, v14, v17
	v_add_f32_e32 v55, v30, v10
	v_mul_f32_e32 v75, 0xbf167918, v59
	v_fma_f32 v77, v58, s5, -v8
	v_sub_f32_e32 v58, v30, v10
	v_sub_f32_e32 v14, v48, v67
	v_mov_b32_e32 v30, v21
	v_add_f32_e32 v62, v68, v11
	v_add_f32_e32 v22, v73, v69
	v_fmac_f32_e32 v75, 0x3f4f1bbd, v25
	v_add_f32_e32 v25, v7, v53
	v_sub_f32_e32 v59, v68, v11
	v_sub_f32_e32 v9, v69, v73
	;; [unrolled: 1-line block ×3, first 2 shown]
	v_fmac_f32_e32 v30, 0x3f737871, v14
	v_sub_f32_e32 v53, v50, v52
	v_sub_f32_e32 v68, v47, v49
	;; [unrolled: 1-line block ×3, first 2 shown]
	v_fmac_f32_e32 v21, 0xbf737871, v14
	v_fmac_f32_e32 v30, 0x3f167918, v53
	v_add_f32_e32 v68, v69, v68
	v_fmac_f32_e32 v21, 0xbf167918, v53
	v_fmac_f32_e32 v30, 0x3e9e377a, v68
	;; [unrolled: 1-line block ×3, first 2 shown]
	v_add_f32_e32 v68, v66, v47
	v_add_f32_e32 v54, v57, v1
	v_sub_f32_e32 v57, v1, v57
	v_add_f32_e32 v1, v47, v17
	v_fmac_f32_e32 v17, -0.5, v68
	v_mov_b32_e32 v68, v17
	v_fmac_f32_e32 v68, 0xbf737871, v53
	v_fmac_f32_e32 v17, 0x3f737871, v53
	;; [unrolled: 1-line block ×4, first 2 shown]
	v_add_f32_e32 v14, v48, v18
	v_add_f32_e32 v8, v70, v77
	v_sub_f32_e32 v7, v70, v77
	v_sub_f32_e32 v69, v49, v47
	;; [unrolled: 1-line block ×3, first 2 shown]
	v_add_f32_e32 v14, v50, v14
	v_add_f32_e32 v69, v70, v69
	;; [unrolled: 1-line block ×4, first 2 shown]
	v_fmac_f32_e32 v68, 0x3e9e377a, v69
	v_fmac_f32_e32 v17, 0x3e9e377a, v69
	v_add_f32_e32 v69, v67, v14
	v_add_f32_e32 v14, v52, v50
	v_add_f32_e32 v1, v51, v1
	v_fma_f32 v70, -0.5, v14, v18
	v_add_f32_e32 v1, v66, v1
	v_sub_f32_e32 v14, v47, v66
	v_mov_b32_e32 v66, v70
	v_fmac_f32_e32 v66, 0xbf737871, v14
	v_sub_f32_e32 v47, v49, v51
	v_sub_f32_e32 v49, v48, v50
	v_sub_f32_e32 v51, v67, v52
	v_fmac_f32_e32 v70, 0x3f737871, v14
	v_fmac_f32_e32 v66, 0xbf167918, v47
	v_add_f32_e32 v49, v51, v49
	v_fmac_f32_e32 v70, 0x3f167918, v47
	v_fmac_f32_e32 v66, 0x3e9e377a, v49
	;; [unrolled: 1-line block ×3, first 2 shown]
	v_add_f32_e32 v49, v67, v48
	v_fmac_f32_e32 v18, -0.5, v49
	v_add_f32_e32 v23, v71, v75
	v_sub_f32_e32 v10, v71, v75
	v_mov_b32_e32 v71, v18
	v_fmac_f32_e32 v71, 0x3f737871, v47
	v_fmac_f32_e32 v18, 0xbf737871, v47
	;; [unrolled: 1-line block ×4, first 2 shown]
	v_add_f32_e32 v14, v12, v15
	s_waitcnt vmcnt(1)
	v_add_f32_e32 v14, v45, v14
	v_sub_f32_e32 v48, v50, v48
	v_sub_f32_e32 v49, v52, v67
	v_add_f32_e32 v14, v19, v14
	v_add_f32_e32 v48, v49, v48
	;; [unrolled: 1-line block ×4, first 2 shown]
	v_fmac_f32_e32 v71, 0x3e9e377a, v48
	v_fmac_f32_e32 v18, 0x3e9e377a, v48
	v_fma_f32 v48, -0.5, v14, v15
	v_sub_f32_e32 v14, v13, v44
	v_mov_b32_e32 v49, v48
	v_fmac_f32_e32 v49, 0x3f737871, v14
	v_sub_f32_e32 v50, v46, v20
	v_sub_f32_e32 v51, v12, v45
	;; [unrolled: 1-line block ×3, first 2 shown]
	v_fmac_f32_e32 v48, 0xbf737871, v14
	v_fmac_f32_e32 v49, 0x3f167918, v50
	v_add_f32_e32 v51, v52, v51
	v_fmac_f32_e32 v48, 0xbf167918, v50
	v_fmac_f32_e32 v49, 0x3e9e377a, v51
	;; [unrolled: 1-line block ×3, first 2 shown]
	v_add_f32_e32 v51, v43, v12
	v_fmac_f32_e32 v15, -0.5, v51
	v_mov_b32_e32 v67, v15
	v_fmac_f32_e32 v67, 0xbf737871, v50
	v_fmac_f32_e32 v15, 0x3f737871, v50
	;; [unrolled: 1-line block ×4, first 2 shown]
	v_add_f32_e32 v14, v13, v16
	v_add_f32_e32 v14, v46, v14
	;; [unrolled: 1-line block ×4, first 2 shown]
	v_sub_f32_e32 v11, v72, v76
	v_add_f32_e32 v72, v44, v14
	v_add_f32_e32 v14, v20, v46
	v_fma_f32 v73, -0.5, v14, v16
	v_sub_f32_e32 v51, v45, v12
	v_sub_f32_e32 v12, v12, v43
	v_mov_b32_e32 v14, v73
	v_sub_f32_e32 v52, v19, v43
	v_fmac_f32_e32 v14, 0xbf737871, v12
	v_sub_f32_e32 v19, v45, v19
	v_sub_f32_e32 v43, v13, v46
	;; [unrolled: 1-line block ×3, first 2 shown]
	v_fmac_f32_e32 v73, 0x3f737871, v12
	v_fmac_f32_e32 v14, 0xbf167918, v19
	v_add_f32_e32 v43, v45, v43
	v_fmac_f32_e32 v73, 0x3f167918, v19
	v_fmac_f32_e32 v14, 0x3e9e377a, v43
	v_fmac_f32_e32 v73, 0x3e9e377a, v43
	v_add_f32_e32 v43, v44, v13
	v_fmac_f32_e32 v16, -0.5, v43
	v_mov_b32_e32 v43, v16
	v_add_f32_e32 v51, v52, v51
	v_fmac_f32_e32 v43, 0x3f737871, v19
	v_sub_f32_e32 v13, v46, v13
	v_sub_f32_e32 v20, v20, v44
	v_fmac_f32_e32 v16, 0xbf737871, v19
	v_fmac_f32_e32 v67, 0x3e9e377a, v51
	;; [unrolled: 1-line block ×4, first 2 shown]
	v_add_f32_e32 v13, v20, v13
	v_fmac_f32_e32 v16, 0x3f167918, v12
	v_mul_f32_e32 v19, 0x3f4f1bbd, v49
	v_fmac_f32_e32 v43, 0x3e9e377a, v13
	v_fmac_f32_e32 v16, 0x3e9e377a, v13
	;; [unrolled: 1-line block ×3, first 2 shown]
	v_mul_f32_e32 v20, 0x3e9e377a, v67
	v_mul_f32_e32 v12, 0x3e9e377a, v15
	v_mul_f32_e32 v76, 0xbf167918, v49
	v_add_f32_e32 v51, v30, v19
	v_fmac_f32_e32 v20, 0x3f737871, v43
	v_fma_f32 v74, v16, s4, -v12
	v_mul_f32_e32 v12, 0x3f4f1bbd, v48
	v_fmac_f32_e32 v76, 0x3f4f1bbd, v14
	v_mul_f32_e32 v67, 0xbf737871, v67
	v_sub_f32_e32 v46, v30, v19
	v_add_f32_e32 v30, v41, v39
	v_add_f32_e32 v50, v47, v1
	v_add_f32_e32 v52, v68, v20
	v_fma_f32 v75, v73, s7, -v12
	v_add_f32_e32 v13, v66, v76
	v_fmac_f32_e32 v67, 0x3e9e377a, v43
	v_mul_f32_e32 v16, 0x3e9e377a, v16
	v_sub_f32_e32 v45, v1, v47
	v_sub_f32_e32 v47, v68, v20
	;; [unrolled: 1-line block ×3, first 2 shown]
	v_fma_f32 v66, -0.5, v30, v31
	v_add_f32_e32 v44, v21, v75
	v_add_f32_e32 v14, v71, v67
	v_fma_f32 v43, v15, s6, -v16
	v_mul_f32_e32 v16, 0x3f4f1bbd, v73
	v_sub_f32_e32 v49, v21, v75
	v_sub_f32_e32 v21, v71, v67
	;; [unrolled: 1-line block ×3, first 2 shown]
	v_mov_b32_e32 v67, v66
	v_add_f32_e32 v53, v17, v74
	v_add_f32_e32 v12, v72, v69
	;; [unrolled: 1-line block ×3, first 2 shown]
	v_fma_f32 v73, v48, s5, -v16
	v_sub_f32_e32 v48, v17, v74
	v_sub_f32_e32 v17, v69, v72
	v_sub_f32_e32 v18, v18, v43
	v_fmac_f32_e32 v67, 0x3f737871, v30
	v_sub_f32_e32 v43, v40, v42
	v_sub_f32_e32 v68, v37, v39
	;; [unrolled: 1-line block ×3, first 2 shown]
	v_fmac_f32_e32 v66, 0xbf737871, v30
	v_fmac_f32_e32 v67, 0x3f167918, v43
	v_add_f32_e32 v68, v69, v68
	v_fmac_f32_e32 v66, 0xbf167918, v43
	v_fmac_f32_e32 v67, 0x3e9e377a, v68
	;; [unrolled: 1-line block ×3, first 2 shown]
	v_add_f32_e32 v68, v64, v37
	v_add_f32_e32 v1, v37, v31
	v_fmac_f32_e32 v31, -0.5, v68
	v_mov_b32_e32 v68, v31
	v_fmac_f32_e32 v68, 0xbf737871, v43
	v_fmac_f32_e32 v31, 0x3f737871, v43
	;; [unrolled: 1-line block ×4, first 2 shown]
	v_add_f32_e32 v30, v38, v32
	v_add_f32_e32 v16, v70, v73
	v_sub_f32_e32 v19, v70, v73
	v_sub_f32_e32 v69, v39, v37
	;; [unrolled: 1-line block ×3, first 2 shown]
	v_add_f32_e32 v30, v40, v30
	v_add_f32_e32 v69, v70, v69
	;; [unrolled: 1-line block ×4, first 2 shown]
	v_fmac_f32_e32 v68, 0x3e9e377a, v69
	v_fmac_f32_e32 v31, 0x3e9e377a, v69
	v_add_f32_e32 v69, v65, v30
	v_add_f32_e32 v30, v42, v40
	;; [unrolled: 1-line block ×3, first 2 shown]
	v_fma_f32 v70, -0.5, v30, v32
	v_add_f32_e32 v1, v64, v1
	v_sub_f32_e32 v30, v37, v64
	v_mov_b32_e32 v64, v70
	v_fmac_f32_e32 v64, 0xbf737871, v30
	v_sub_f32_e32 v37, v39, v41
	v_sub_f32_e32 v39, v38, v40
	;; [unrolled: 1-line block ×3, first 2 shown]
	v_fmac_f32_e32 v70, 0x3f737871, v30
	v_fmac_f32_e32 v64, 0xbf167918, v37
	v_add_f32_e32 v39, v41, v39
	v_fmac_f32_e32 v70, 0x3f167918, v37
	v_fmac_f32_e32 v64, 0x3e9e377a, v39
	;; [unrolled: 1-line block ×3, first 2 shown]
	v_add_f32_e32 v39, v65, v38
	v_fmac_f32_e32 v32, -0.5, v39
	v_mov_b32_e32 v71, v32
	v_fmac_f32_e32 v71, 0x3f737871, v37
	v_fmac_f32_e32 v32, 0xbf737871, v37
	;; [unrolled: 1-line block ×4, first 2 shown]
	v_add_f32_e32 v30, v26, v4
	v_add_f32_e32 v30, v28, v30
	;; [unrolled: 1-line block ×3, first 2 shown]
	v_sub_f32_e32 v38, v40, v38
	v_sub_f32_e32 v39, v42, v65
	s_waitcnt vmcnt(0)
	v_add_f32_e32 v37, v35, v30
	v_add_f32_e32 v30, v33, v28
	;; [unrolled: 1-line block ×3, first 2 shown]
	v_fma_f32 v30, -0.5, v30, v4
	v_fmac_f32_e32 v71, 0x3e9e377a, v38
	v_fmac_f32_e32 v32, 0x3e9e377a, v38
	v_sub_f32_e32 v38, v27, v36
	v_mov_b32_e32 v39, v30
	v_fmac_f32_e32 v39, 0x3f737871, v38
	v_sub_f32_e32 v40, v29, v34
	v_sub_f32_e32 v41, v26, v28
	;; [unrolled: 1-line block ×3, first 2 shown]
	v_fmac_f32_e32 v30, 0xbf737871, v38
	v_fmac_f32_e32 v39, 0x3f167918, v40
	v_add_f32_e32 v41, v42, v41
	v_fmac_f32_e32 v30, 0xbf167918, v40
	v_fmac_f32_e32 v39, 0x3e9e377a, v41
	;; [unrolled: 1-line block ×3, first 2 shown]
	v_add_f32_e32 v41, v35, v26
	v_fmac_f32_e32 v4, -0.5, v41
	v_mov_b32_e32 v65, v4
	v_fmac_f32_e32 v65, 0xbf737871, v40
	v_fmac_f32_e32 v4, 0x3f737871, v40
	;; [unrolled: 1-line block ×4, first 2 shown]
	v_add_f32_e32 v38, v27, v5
	v_add_f32_e32 v38, v29, v38
	;; [unrolled: 1-line block ×5, first 2 shown]
	v_fma_f32 v38, -0.5, v38, v5
	v_sub_f32_e32 v41, v28, v26
	v_sub_f32_e32 v42, v33, v35
	;; [unrolled: 1-line block ×3, first 2 shown]
	v_mov_b32_e32 v35, v38
	v_fmac_f32_e32 v35, 0xbf737871, v26
	v_sub_f32_e32 v28, v28, v33
	v_sub_f32_e32 v33, v27, v29
	;; [unrolled: 1-line block ×3, first 2 shown]
	v_fmac_f32_e32 v38, 0x3f737871, v26
	v_fmac_f32_e32 v35, 0xbf167918, v28
	v_add_f32_e32 v33, v40, v33
	v_fmac_f32_e32 v38, 0x3f167918, v28
	v_fmac_f32_e32 v35, 0x3e9e377a, v33
	;; [unrolled: 1-line block ×3, first 2 shown]
	v_add_f32_e32 v33, v36, v27
	v_fmac_f32_e32 v5, -0.5, v33
	v_add_f32_e32 v41, v42, v41
	v_mov_b32_e32 v33, v5
	v_sub_f32_e32 v27, v29, v27
	v_sub_f32_e32 v29, v34, v36
	v_fmac_f32_e32 v5, 0xbf737871, v28
	v_fmac_f32_e32 v4, 0x3e9e377a, v41
	;; [unrolled: 1-line block ×3, first 2 shown]
	v_add_f32_e32 v27, v29, v27
	v_fmac_f32_e32 v5, 0x3f167918, v26
	v_fmac_f32_e32 v33, 0xbf167918, v26
	;; [unrolled: 1-line block ×3, first 2 shown]
	v_mul_f32_e32 v26, 0x3e9e377a, v4
	v_fmac_f32_e32 v65, 0x3e9e377a, v41
	v_mul_f32_e32 v34, 0x3f4f1bbd, v39
	v_fma_f32 v74, v5, s4, -v26
	v_mul_f32_e32 v26, 0x3f4f1bbd, v30
	v_mul_f32_e32 v76, 0xbf167918, v39
	v_fmac_f32_e32 v33, 0x3e9e377a, v27
	v_add_f32_e32 v40, v37, v1
	v_fmac_f32_e32 v34, 0x3f167918, v35
	v_mul_f32_e32 v73, 0x3e9e377a, v65
	v_fma_f32 v75, v38, s7, -v26
	v_fmac_f32_e32 v76, 0x3f4f1bbd, v35
	v_mul_f32_e32 v35, 0xbf737871, v65
	v_mul_f32_e32 v5, 0x3e9e377a, v5
	v_sub_f32_e32 v37, v1, v37
	v_mul_u32_u24_e32 v1, 10, v0
	v_fmac_f32_e32 v73, 0x3f737871, v33
	v_add_f32_e32 v36, v66, v75
	v_fmac_f32_e32 v35, 0x3e9e377a, v33
	v_fma_f32 v33, v4, s6, -v5
	v_mul_f32_e32 v4, 0x3f4f1bbd, v38
	v_sub_f32_e32 v5, v66, v75
	v_lshl_add_u32 v66, v1, 2, 0
	s_movk_i32 s10, 0xffdc
	v_fma_f32 v65, v30, s5, -v4
	v_mad_i32_i24 v1, v0, s10, v66
	v_add_f32_e32 v41, v67, v34
	v_add_f32_e32 v42, v68, v73
	;; [unrolled: 1-line block ×8, first 2 shown]
	v_sub_f32_e32 v38, v67, v34
	v_sub_f32_e32 v39, v68, v73
	;; [unrolled: 1-line block ×8, first 2 shown]
	v_add_u32_e32 v72, 0x12c0, v66
	v_add_u32_e32 v73, 0x12d0, v66
	;; [unrolled: 1-line block ×18, first 2 shown]
	s_movk_i32 s10, 0xcd
	ds_write2_b64 v66, v[54:55], v[62:63] offset1:1
	ds_write2_b64 v66, v[56:57], v[58:59] offset0:2 offset1:3
	ds_write_b64 v66, v[60:61] offset:32
	ds_write2_b64 v72, v[50:51], v[52:53] offset1:1
	ds_write2_b64 v73, v[44:45], v[46:47] offset1:1
	ds_write_b64 v66, v[48:49] offset:4832
	ds_write2_b64 v81, v[40:41], v[42:43] offset1:1
	ds_write2_b64 v82, v[36:37], v[38:39] offset1:1
	ds_write_b64 v66, v[4:5] offset:9632
	s_waitcnt lgkmcnt(0)
	s_barrier
	ds_read2_b32 v[36:37], v1 offset1:120
	ds_read2_b32 v[4:5], v65 offset0:112 offset1:232
	ds_read2_b32 v[60:61], v74 offset0:80 offset1:200
	;; [unrolled: 1-line block ×14, first 2 shown]
	s_waitcnt lgkmcnt(0)
	s_barrier
	ds_write2_b64 v66, v[22:23], v[24:25] offset1:1
	ds_write2_b64 v66, v[8:9], v[10:11] offset0:2 offset1:3
	ds_write_b64 v66, v[6:7] offset:32
	ds_write2_b64 v72, v[12:13], v[14:15] offset1:1
	ds_write2_b64 v73, v[16:17], v[20:21] offset1:1
	ds_write_b64 v66, v[18:19] offset:4832
	ds_write2_b64 v81, v[26:27], v[28:29] offset1:1
	ds_write2_b64 v82, v[30:31], v[34:35] offset1:1
	ds_write_b64 v66, v[32:33] offset:9632
	v_mul_lo_u16_sdwa v6, v0, s10 dst_sel:DWORD dst_unused:UNUSED_PAD src0_sel:BYTE_0 src1_sel:DWORD
	v_lshrrev_b16_e32 v14, 11, v6
	v_mul_lo_u16_e32 v6, 10, v14
	v_sub_u16_e32 v15, v0, v6
	v_mov_b32_e32 v6, 9
	v_mul_u32_u24_sdwa v7, v15, v6 dst_sel:DWORD dst_unused:UNUSED_PAD src0_sel:BYTE_0 src1_sel:DWORD
	v_lshlrev_b32_e32 v7, 3, v7
	s_waitcnt lgkmcnt(0)
	s_barrier
	global_load_dwordx4 v[17:20], v7, s[8:9]
	global_load_dwordx4 v[21:24], v7, s[8:9] offset:16
	global_load_dwordx4 v[25:28], v7, s[8:9] offset:32
	;; [unrolled: 1-line block ×3, first 2 shown]
	v_add_u16_e32 v35, 0x78, v0
	v_mul_lo_u16_sdwa v8, v35, s10 dst_sel:DWORD dst_unused:UNUSED_PAD src0_sel:BYTE_0 src1_sel:DWORD
	v_lshrrev_b16_e32 v10, 11, v8
	v_mul_lo_u16_e32 v8, 10, v10
	v_sub_u16_e32 v11, v35, v8
	v_mul_u32_u24_sdwa v6, v11, v6 dst_sel:DWORD dst_unused:UNUSED_PAD src0_sel:BYTE_0 src1_sel:DWORD
	v_lshlrev_b32_e32 v12, 3, v6
	global_load_dwordx4 v[81:84], v12, s[8:9]
	global_load_dwordx2 v[97:98], v7, s[8:9] offset:64
	global_load_dwordx4 v[85:88], v12, s[8:9] offset:16
	global_load_dwordx4 v[89:92], v12, s[8:9] offset:32
	v_add_u32_e32 v34, 0xf0, v0
	s_mov_b32 s10, 0xcccd
	ds_read2_b32 v[8:9], v1 offset1:120
	ds_read2_b32 v[6:7], v65 offset0:112 offset1:232
	ds_read2_b32 v[99:100], v74 offset0:80 offset1:200
	;; [unrolled: 1-line block ×8, first 2 shown]
	global_load_dwordx4 v[72:75], v12, s[8:9] offset:48
	global_load_dwordx2 v[113:114], v12, s[8:9] offset:64
	v_mul_u32_u24_sdwa v12, v34, s10 dst_sel:DWORD dst_unused:UNUSED_PAD src0_sel:WORD_0 src1_sel:DWORD
	v_lshrrev_b32_e32 v12, 19, v12
	s_waitcnt vmcnt(9) lgkmcnt(7)
	v_mul_f32_e32 v13, v7, v18
	v_fma_f32 v16, v5, v17, -v13
	v_mul_lo_u16_e32 v13, 10, v12
	v_sub_u16_e32 v13, v34, v13
	v_mul_u32_u24_e32 v33, 9, v13
	v_lshlrev_b32_e32 v33, 3, v33
	global_load_dwordx4 v[76:79], v33, s[8:9] offset:16
	global_load_dwordx4 v[93:96], v33, s[8:9]
	v_mul_f32_e32 v5, v5, v18
	v_fmac_f32_e32 v5, v7, v17
	v_mul_f32_e32 v115, v60, v20
	s_waitcnt vmcnt(10) lgkmcnt(5)
	v_mul_f32_e32 v17, v102, v22
	v_mul_f32_e32 v7, v99, v20
	v_fmac_f32_e32 v115, v99, v19
	v_fma_f32 v99, v39, v21, -v17
	v_mul_f32_e32 v116, v39, v22
	s_waitcnt lgkmcnt(4)
	v_mul_f32_e32 v17, v103, v24
	v_fmac_f32_e32 v116, v102, v21
	v_fma_f32 v102, v56, v23, -v17
	v_mul_f32_e32 v56, v56, v24
	v_fma_f32 v7, v60, v19, -v7
	v_fmac_f32_e32 v56, v103, v23
	global_load_dwordx4 v[17:20], v33, s[8:9] offset:48
	global_load_dwordx4 v[21:24], v33, s[8:9] offset:32
	s_waitcnt vmcnt(11) lgkmcnt(3)
	v_mul_f32_e32 v39, v106, v26
	v_mul_f32_e32 v117, v41, v26
	v_fma_f32 v103, v41, v25, -v39
	v_fmac_f32_e32 v117, v106, v25
	s_waitcnt lgkmcnt(2)
	v_mul_f32_e32 v25, v107, v28
	v_fma_f32 v106, v52, v27, -v25
	v_mul_f32_e32 v52, v52, v28
	s_waitcnt vmcnt(10) lgkmcnt(1)
	v_mul_f32_e32 v25, v110, v30
	v_fmac_f32_e32 v52, v107, v27
	v_fma_f32 v107, v43, v29, -v25
	v_mul_f32_e32 v43, v43, v30
	s_waitcnt lgkmcnt(0)
	v_mul_f32_e32 v25, v111, v32
	v_fmac_f32_e32 v43, v110, v29
	v_fma_f32 v110, v54, v31, -v25
	global_load_dwordx2 v[25:26], v33, s[8:9] offset:64
	v_mul_f32_e32 v54, v54, v32
	v_fmac_f32_e32 v54, v111, v31
	ds_read2_b32 v[27:28], v67 offset0:48 offset1:168
	ds_read2_b32 v[29:30], v68 offset0:96 offset1:216
	;; [unrolled: 1-line block ×3, first 2 shown]
	s_waitcnt vmcnt(10)
	v_mul_f32_e32 v33, v100, v84
	v_fma_f32 v111, v61, v83, -v33
	v_mul_f32_e32 v84, v61, v84
	s_waitcnt lgkmcnt(1)
	v_mul_f32_e32 v33, v29, v82
	v_mul_f32_e32 v82, v58, v82
	v_fma_f32 v118, v58, v81, -v33
	v_fmac_f32_e32 v82, v29, v81
	ds_read2_b32 v[66:67], v64 offset0:128 offset1:248
	ds_read2_b32 v[80:81], v70 offset0:80 offset1:200
	s_waitcnt vmcnt(9)
	v_mul_f32_e32 v29, v28, v98
	v_fma_f32 v33, v45, v97, -v29
	v_mul_f32_e32 v45, v45, v98
	v_fmac_f32_e32 v45, v28, v97
	ds_read2_b32 v[28:29], v69 offset0:32 offset1:152
	s_waitcnt vmcnt(8)
	v_mul_f32_e32 v39, v104, v88
	v_fmac_f32_e32 v84, v100, v83
	v_fma_f32 v83, v57, v87, -v39
	s_waitcnt lgkmcnt(3)
	v_mul_f32_e32 v39, v31, v86
	v_mul_f32_e32 v86, v50, v86
	v_fma_f32 v97, v50, v85, -v39
	v_fmac_f32_e32 v86, v31, v85
	s_waitcnt vmcnt(7) lgkmcnt(2)
	v_mul_f32_e32 v31, v66, v90
	v_mul_f32_e32 v39, v108, v92
	v_mul_f32_e32 v88, v57, v88
	v_fma_f32 v31, v48, v89, -v31
	v_mul_f32_e32 v48, v48, v90
	v_fma_f32 v85, v53, v91, -v39
	s_waitcnt vmcnt(6) lgkmcnt(1)
	v_mul_f32_e32 v39, v80, v73
	v_fmac_f32_e32 v88, v104, v87
	v_fmac_f32_e32 v48, v66, v89
	v_fma_f32 v87, v46, v72, -v39
	v_mul_f32_e32 v89, v46, v73
	v_mul_f32_e32 v39, v112, v75
	v_fmac_f32_e32 v89, v80, v72
	v_fma_f32 v80, v55, v74, -v39
	s_waitcnt vmcnt(5) lgkmcnt(0)
	v_mul_f32_e32 v39, v28, v114
	v_fma_f32 v90, v62, v113, -v39
	v_mul_f32_e32 v62, v62, v114
	v_fmac_f32_e32 v62, v28, v113
	v_mul_f32_e32 v55, v55, v75
	v_fmac_f32_e32 v55, v112, v74
	;; [unrolled: 2-line block ×3, first 2 shown]
	s_waitcnt vmcnt(0)
	s_barrier
	v_mul_f32_e32 v70, v40, v79
	v_mul_f32_e32 v28, v30, v94
	v_fma_f32 v39, v59, v93, -v28
	v_mul_f32_e32 v28, v101, v96
	v_fma_f32 v72, v38, v95, -v28
	;; [unrolled: 2-line block ×4, first 2 shown]
	v_mul_f32_e32 v61, v38, v96
	v_mul_f32_e32 v38, v51, v77
	v_fmac_f32_e32 v38, v32, v76
	v_mul_f32_e32 v41, v59, v94
	v_fmac_f32_e32 v41, v30, v93
	v_sub_f32_e32 v32, v33, v107
	v_mul_f32_e32 v74, v44, v20
	v_mul_f32_e32 v28, v67, v22
	;; [unrolled: 1-line block ×3, first 2 shown]
	v_fma_f32 v51, v49, v21, -v28
	v_fmac_f32_e32 v40, v67, v21
	v_mul_f32_e32 v21, v109, v24
	v_fma_f32 v75, v42, v23, -v21
	v_mul_f32_e32 v21, v81, v18
	v_mul_f32_e32 v49, v47, v18
	v_add_f32_e32 v18, v102, v106
	v_mul_f32_e32 v71, v42, v24
	v_fma_f32 v22, -0.5, v18, v36
	v_fmac_f32_e32 v71, v109, v23
	v_fma_f32 v58, v47, v17, -v21
	v_fmac_f32_e32 v49, v81, v17
	v_mul_f32_e32 v17, v27, v20
	v_sub_f32_e32 v18, v115, v54
	v_mov_b32_e32 v23, v22
	v_fma_f32 v76, v44, v19, -v17
	v_fmac_f32_e32 v74, v27, v19
	v_fmac_f32_e32 v23, 0x3f737871, v18
	v_sub_f32_e32 v19, v56, v52
	v_sub_f32_e32 v20, v7, v102
	;; [unrolled: 1-line block ×3, first 2 shown]
	v_fmac_f32_e32 v22, 0xbf737871, v18
	v_fmac_f32_e32 v23, 0x3f167918, v19
	v_add_f32_e32 v20, v20, v21
	v_fmac_f32_e32 v22, 0xbf167918, v19
	v_fmac_f32_e32 v23, 0x3e9e377a, v20
	;; [unrolled: 1-line block ×3, first 2 shown]
	v_add_f32_e32 v20, v7, v110
	v_mul_f32_e32 v17, v29, v26
	v_mul_f32_e32 v50, v63, v26
	v_fma_f32 v24, -0.5, v20, v36
	v_fma_f32 v60, v63, v25, -v17
	v_fmac_f32_e32 v50, v29, v25
	v_mov_b32_e32 v25, v24
	v_fmac_f32_e32 v25, 0xbf737871, v19
	v_fmac_f32_e32 v24, 0x3f737871, v19
	;; [unrolled: 1-line block ×4, first 2 shown]
	v_add_f32_e32 v18, v8, v115
	v_add_f32_e32 v18, v18, v56
	v_add_f32_e32 v18, v18, v52
	v_add_f32_e32 v26, v18, v54
	v_add_f32_e32 v18, v56, v52
	v_sub_f32_e32 v20, v102, v7
	v_sub_f32_e32 v21, v106, v110
	v_fma_f32 v27, -0.5, v18, v8
	v_add_f32_e32 v17, v36, v7
	v_add_f32_e32 v20, v20, v21
	v_sub_f32_e32 v7, v7, v110
	v_mov_b32_e32 v28, v27
	v_fmac_f32_e32 v25, 0x3e9e377a, v20
	v_fmac_f32_e32 v24, 0x3e9e377a, v20
	;; [unrolled: 1-line block ×3, first 2 shown]
	v_sub_f32_e32 v18, v102, v106
	v_sub_f32_e32 v19, v115, v56
	;; [unrolled: 1-line block ×3, first 2 shown]
	v_fmac_f32_e32 v27, 0x3f737871, v7
	v_fmac_f32_e32 v28, 0xbf167918, v18
	v_add_f32_e32 v19, v19, v20
	v_fmac_f32_e32 v27, 0x3f167918, v18
	v_fmac_f32_e32 v28, 0x3e9e377a, v19
	;; [unrolled: 1-line block ×3, first 2 shown]
	v_add_f32_e32 v19, v115, v54
	v_fma_f32 v29, -0.5, v19, v8
	v_mov_b32_e32 v30, v29
	v_fmac_f32_e32 v30, 0x3f737871, v18
	v_fmac_f32_e32 v29, 0xbf737871, v18
	;; [unrolled: 1-line block ×4, first 2 shown]
	v_add_f32_e32 v7, v16, v99
	v_sub_f32_e32 v8, v56, v115
	v_sub_f32_e32 v19, v52, v54
	v_add_f32_e32 v7, v7, v103
	v_add_f32_e32 v8, v8, v19
	;; [unrolled: 1-line block ×3, first 2 shown]
	v_fmac_f32_e32 v30, 0x3e9e377a, v8
	v_fmac_f32_e32 v29, 0x3e9e377a, v8
	v_add_f32_e32 v8, v7, v33
	v_add_f32_e32 v7, v103, v107
	v_fma_f32 v18, -0.5, v7, v16
	v_sub_f32_e32 v7, v116, v45
	v_mov_b32_e32 v19, v18
	v_fmac_f32_e32 v19, 0x3f737871, v7
	v_sub_f32_e32 v20, v117, v43
	v_sub_f32_e32 v21, v99, v103
	v_fmac_f32_e32 v18, 0xbf737871, v7
	v_fmac_f32_e32 v19, 0x3f167918, v20
	v_add_f32_e32 v21, v21, v32
	v_fmac_f32_e32 v18, 0xbf167918, v20
	v_fmac_f32_e32 v19, 0x3e9e377a, v21
	;; [unrolled: 1-line block ×3, first 2 shown]
	v_add_f32_e32 v21, v99, v33
	v_fmac_f32_e32 v16, -0.5, v21
	v_mov_b32_e32 v36, v16
	v_fmac_f32_e32 v36, 0xbf737871, v20
	v_fmac_f32_e32 v16, 0x3f737871, v20
	;; [unrolled: 1-line block ×4, first 2 shown]
	v_add_f32_e32 v7, v5, v116
	v_add_f32_e32 v7, v7, v117
	;; [unrolled: 1-line block ×5, first 2 shown]
	v_sub_f32_e32 v21, v103, v99
	v_sub_f32_e32 v32, v107, v33
	v_fma_f32 v44, -0.5, v7, v5
	v_add_f32_e32 v21, v21, v32
	v_sub_f32_e32 v7, v99, v33
	v_mov_b32_e32 v46, v44
	v_fmac_f32_e32 v36, 0x3e9e377a, v21
	v_fmac_f32_e32 v16, 0x3e9e377a, v21
	;; [unrolled: 1-line block ×3, first 2 shown]
	v_sub_f32_e32 v20, v103, v107
	v_sub_f32_e32 v21, v116, v117
	;; [unrolled: 1-line block ×3, first 2 shown]
	v_fmac_f32_e32 v44, 0x3f737871, v7
	v_fmac_f32_e32 v46, 0xbf167918, v20
	v_add_f32_e32 v21, v21, v32
	v_fmac_f32_e32 v44, 0x3f167918, v20
	v_fmac_f32_e32 v46, 0x3e9e377a, v21
	;; [unrolled: 1-line block ×3, first 2 shown]
	v_add_f32_e32 v21, v116, v45
	v_fmac_f32_e32 v5, -0.5, v21
	v_mov_b32_e32 v47, v5
	v_fmac_f32_e32 v47, 0x3f737871, v20
	v_sub_f32_e32 v21, v117, v116
	v_sub_f32_e32 v32, v43, v45
	v_fmac_f32_e32 v5, 0xbf737871, v20
	v_fmac_f32_e32 v47, 0xbf167918, v7
	v_add_f32_e32 v21, v21, v32
	v_fmac_f32_e32 v5, 0x3f167918, v7
	v_fmac_f32_e32 v47, 0x3e9e377a, v21
	;; [unrolled: 1-line block ×3, first 2 shown]
	v_mul_f32_e32 v7, 0x3e9e377a, v16
	v_mul_f32_e32 v45, 0x3f737871, v47
	v_fma_f32 v52, v5, s4, -v7
	v_mul_f32_e32 v7, 0x3f4f1bbd, v18
	v_fmac_f32_e32 v45, 0x3e9e377a, v36
	v_fma_f32 v54, v44, s7, -v7
	v_mul_f32_e32 v36, 0xbf737871, v36
	v_mul_f32_e32 v5, 0x3e9e377a, v5
	v_add_f32_e32 v17, v17, v102
	v_add_f32_e32 v7, v22, v54
	v_fmac_f32_e32 v36, 0x3e9e377a, v47
	v_fma_f32 v47, v16, s6, -v5
	v_sub_f32_e32 v16, v22, v54
	v_add_f32_e32 v22, v37, v111
	v_add_f32_e32 v17, v17, v106
	v_mul_f32_e32 v43, 0x3f167918, v46
	v_add_f32_e32 v22, v22, v83
	v_add_f32_e32 v17, v17, v110
	v_fmac_f32_e32 v43, 0x3f4f1bbd, v19
	v_add_f32_e32 v22, v22, v85
	v_add_f32_e32 v32, v17, v8
	;; [unrolled: 1-line block ×3, first 2 shown]
	v_mul_f32_e32 v56, 0xbf167918, v19
	v_mul_f32_e32 v5, 0x3f4f1bbd, v44
	v_sub_f32_e32 v19, v17, v8
	v_sub_f32_e32 v17, v23, v43
	v_add_f32_e32 v23, v22, v80
	v_add_f32_e32 v22, v83, v85
	;; [unrolled: 1-line block ×3, first 2 shown]
	v_fma_f32 v44, v18, s5, -v5
	v_sub_f32_e32 v18, v25, v45
	v_fma_f32 v25, -0.5, v22, v37
	v_add_f32_e32 v21, v24, v52
	v_fmac_f32_e32 v56, 0x3f4f1bbd, v46
	v_sub_f32_e32 v8, v24, v52
	v_sub_f32_e32 v22, v84, v55
	v_mov_b32_e32 v24, v25
	v_add_f32_e32 v68, v26, v42
	v_add_f32_e32 v69, v28, v56
	;; [unrolled: 1-line block ×3, first 2 shown]
	v_sub_f32_e32 v46, v26, v42
	v_sub_f32_e32 v43, v28, v56
	;; [unrolled: 1-line block ×3, first 2 shown]
	v_fmac_f32_e32 v24, 0x3f737871, v22
	v_sub_f32_e32 v26, v88, v53
	v_sub_f32_e32 v27, v111, v83
	;; [unrolled: 1-line block ×3, first 2 shown]
	v_fmac_f32_e32 v25, 0xbf737871, v22
	v_fmac_f32_e32 v24, 0x3f167918, v26
	v_add_f32_e32 v27, v27, v28
	v_fmac_f32_e32 v25, 0xbf167918, v26
	v_fmac_f32_e32 v24, 0x3e9e377a, v27
	;; [unrolled: 1-line block ×3, first 2 shown]
	v_add_f32_e32 v27, v111, v80
	v_fmac_f32_e32 v37, -0.5, v27
	v_add_f32_e32 v66, v30, v36
	v_sub_f32_e32 v45, v30, v36
	v_mov_b32_e32 v36, v37
	v_fmac_f32_e32 v36, 0xbf737871, v26
	v_fmac_f32_e32 v37, 0x3f737871, v26
	;; [unrolled: 1-line block ×4, first 2 shown]
	v_add_f32_e32 v22, v9, v84
	v_add_f32_e32 v22, v22, v88
	;; [unrolled: 1-line block ×5, first 2 shown]
	v_sub_f32_e32 v27, v83, v111
	v_sub_f32_e32 v28, v85, v80
	v_fma_f32 v63, -0.5, v22, v9
	v_add_f32_e32 v27, v27, v28
	v_sub_f32_e32 v22, v111, v80
	v_mov_b32_e32 v59, v63
	v_fmac_f32_e32 v36, 0x3e9e377a, v27
	v_fmac_f32_e32 v37, 0x3e9e377a, v27
	;; [unrolled: 1-line block ×3, first 2 shown]
	v_sub_f32_e32 v26, v83, v85
	v_sub_f32_e32 v27, v84, v88
	v_sub_f32_e32 v28, v55, v53
	v_fmac_f32_e32 v63, 0x3f737871, v22
	v_fmac_f32_e32 v59, 0xbf167918, v26
	v_add_f32_e32 v27, v27, v28
	v_fmac_f32_e32 v63, 0x3f167918, v26
	v_fmac_f32_e32 v59, 0x3e9e377a, v27
	;; [unrolled: 1-line block ×3, first 2 shown]
	v_add_f32_e32 v27, v84, v55
	v_fmac_f32_e32 v9, -0.5, v27
	v_mov_b32_e32 v77, v9
	v_fmac_f32_e32 v77, 0x3f737871, v26
	v_fmac_f32_e32 v9, 0xbf737871, v26
	;; [unrolled: 1-line block ×4, first 2 shown]
	v_add_f32_e32 v22, v118, v97
	v_add_f32_e32 v22, v22, v31
	v_sub_f32_e32 v27, v88, v84
	v_sub_f32_e32 v28, v53, v55
	v_add_f32_e32 v22, v22, v87
	v_add_f32_e32 v27, v27, v28
	;; [unrolled: 1-line block ×4, first 2 shown]
	v_fmac_f32_e32 v77, 0x3e9e377a, v27
	v_fmac_f32_e32 v9, 0x3e9e377a, v27
	v_fma_f32 v27, -0.5, v22, v118
	v_sub_f32_e32 v22, v86, v62
	v_mov_b32_e32 v52, v27
	v_add_f32_e32 v67, v29, v47
	v_sub_f32_e32 v42, v29, v47
	v_fmac_f32_e32 v52, 0x3f737871, v22
	v_sub_f32_e32 v28, v48, v89
	v_sub_f32_e32 v29, v97, v31
	;; [unrolled: 1-line block ×3, first 2 shown]
	v_fmac_f32_e32 v27, 0xbf737871, v22
	v_fmac_f32_e32 v52, 0x3f167918, v28
	v_add_f32_e32 v29, v29, v30
	v_fmac_f32_e32 v27, 0xbf167918, v28
	v_fmac_f32_e32 v52, 0x3e9e377a, v29
	;; [unrolled: 1-line block ×3, first 2 shown]
	v_add_f32_e32 v29, v97, v90
	v_fmac_f32_e32 v118, -0.5, v29
	v_mov_b32_e32 v53, v118
	v_fmac_f32_e32 v53, 0xbf737871, v28
	v_fmac_f32_e32 v118, 0x3f737871, v28
	v_fmac_f32_e32 v53, 0x3f167918, v22
	v_fmac_f32_e32 v118, 0xbf167918, v22
	v_add_f32_e32 v22, v82, v86
	v_add_f32_e32 v22, v22, v48
	v_add_f32_e32 v22, v22, v89
	v_add_f32_e32 v55, v22, v62
	v_add_f32_e32 v22, v48, v89
	v_sub_f32_e32 v29, v31, v97
	v_sub_f32_e32 v30, v87, v90
	v_fma_f32 v54, -0.5, v22, v82
	v_fmac_f32_e32 v70, v105, v78
	v_add_f32_e32 v29, v29, v30
	v_sub_f32_e32 v22, v97, v90
	v_mov_b32_e32 v78, v54
	v_fmac_f32_e32 v53, 0x3e9e377a, v29
	v_fmac_f32_e32 v118, 0x3e9e377a, v29
	;; [unrolled: 1-line block ×3, first 2 shown]
	v_sub_f32_e32 v28, v31, v87
	v_sub_f32_e32 v29, v86, v48
	;; [unrolled: 1-line block ×3, first 2 shown]
	v_fmac_f32_e32 v54, 0x3f737871, v22
	v_fmac_f32_e32 v78, 0xbf167918, v28
	v_add_f32_e32 v29, v29, v30
	v_fmac_f32_e32 v54, 0x3f167918, v28
	v_fmac_f32_e32 v78, 0x3e9e377a, v29
	;; [unrolled: 1-line block ×3, first 2 shown]
	v_add_f32_e32 v29, v86, v62
	v_fmac_f32_e32 v82, -0.5, v29
	v_mov_b32_e32 v79, v82
	v_fmac_f32_e32 v79, 0x3f737871, v28
	v_sub_f32_e32 v29, v48, v86
	v_sub_f32_e32 v30, v89, v62
	v_fmac_f32_e32 v82, 0xbf737871, v28
	v_fmac_f32_e32 v79, 0xbf167918, v22
	v_add_f32_e32 v29, v29, v30
	v_fmac_f32_e32 v82, 0x3f167918, v22
	v_fmac_f32_e32 v79, 0x3e9e377a, v29
	;; [unrolled: 1-line block ×3, first 2 shown]
	v_mul_f32_e32 v22, 0x3e9e377a, v118
	v_mul_f32_e32 v80, 0x3f737871, v79
	v_fma_f32 v81, v82, s4, -v22
	v_mul_f32_e32 v22, 0x3f4f1bbd, v27
	v_mul_f32_e32 v84, 0xbf167918, v52
	;; [unrolled: 1-line block ×3, first 2 shown]
	v_fmac_f32_e32 v80, 0x3e9e377a, v53
	v_fma_f32 v83, v54, s7, -v22
	v_fmac_f32_e32 v84, 0x3f4f1bbd, v78
	v_mul_f32_e32 v78, 0xbf737871, v53
	v_mul_f32_e32 v54, 0x3f4f1bbd, v54
	v_add_f32_e32 v30, v23, v26
	v_add_f32_e32 v28, v36, v80
	v_fmac_f32_e32 v78, 0x3e9e377a, v79
	v_mul_f32_e32 v53, 0x3e9e377a, v82
	v_fma_f32 v82, v27, s5, -v54
	v_sub_f32_e32 v27, v23, v26
	v_sub_f32_e32 v26, v36, v80
	v_add_f32_e32 v36, v73, v75
	v_fmac_f32_e32 v61, v101, v95
	v_fmac_f32_e32 v62, 0x3f4f1bbd, v52
	v_add_f32_e32 v47, v56, v55
	v_add_f32_e32 v48, v59, v84
	;; [unrolled: 1-line block ×3, first 2 shown]
	v_sub_f32_e32 v55, v56, v55
	v_sub_f32_e32 v56, v59, v84
	;; [unrolled: 1-line block ×3, first 2 shown]
	v_fma_f32 v77, -0.5, v36, v4
	v_add_f32_e32 v29, v37, v81
	v_fma_f32 v79, v118, s6, -v53
	v_sub_f32_e32 v23, v37, v81
	v_sub_f32_e32 v36, v61, v74
	v_mov_b32_e32 v37, v77
	v_add_f32_e32 v31, v24, v62
	v_add_f32_e32 v53, v9, v79
	v_sub_f32_e32 v24, v24, v62
	v_sub_f32_e32 v62, v9, v79
	v_fmac_f32_e32 v37, 0x3f737871, v36
	v_sub_f32_e32 v78, v70, v71
	v_sub_f32_e32 v79, v72, v73
	;; [unrolled: 1-line block ×3, first 2 shown]
	v_fmac_f32_e32 v77, 0xbf737871, v36
	v_fmac_f32_e32 v37, 0x3f167918, v78
	v_add_f32_e32 v79, v79, v80
	v_fmac_f32_e32 v77, 0xbf167918, v78
	v_fmac_f32_e32 v37, 0x3e9e377a, v79
	;; [unrolled: 1-line block ×3, first 2 shown]
	v_add_f32_e32 v79, v72, v76
	v_add_f32_e32 v9, v4, v72
	v_fmac_f32_e32 v4, -0.5, v79
	v_mov_b32_e32 v79, v4
	v_fmac_f32_e32 v79, 0xbf737871, v78
	v_fmac_f32_e32 v4, 0x3f737871, v78
	;; [unrolled: 1-line block ×4, first 2 shown]
	v_add_f32_e32 v36, v6, v61
	v_add_f32_e32 v36, v36, v70
	v_sub_f32_e32 v80, v73, v72
	v_sub_f32_e32 v81, v75, v76
	v_add_f32_e32 v36, v36, v71
	v_add_f32_e32 v9, v9, v73
	;; [unrolled: 1-line block ×6, first 2 shown]
	v_fmac_f32_e32 v79, 0x3e9e377a, v80
	v_fmac_f32_e32 v4, 0x3e9e377a, v80
	v_fma_f32 v80, -0.5, v36, v6
	v_add_f32_e32 v9, v9, v76
	v_sub_f32_e32 v36, v72, v76
	v_mov_b32_e32 v76, v80
	v_fmac_f32_e32 v76, 0xbf737871, v36
	v_sub_f32_e32 v72, v73, v75
	v_sub_f32_e32 v73, v61, v70
	;; [unrolled: 1-line block ×3, first 2 shown]
	v_fmac_f32_e32 v80, 0x3f737871, v36
	v_fmac_f32_e32 v76, 0xbf167918, v72
	v_add_f32_e32 v73, v73, v75
	v_fmac_f32_e32 v80, 0x3f167918, v72
	v_fmac_f32_e32 v76, 0x3e9e377a, v73
	;; [unrolled: 1-line block ×3, first 2 shown]
	v_add_f32_e32 v73, v61, v74
	v_fmac_f32_e32 v6, -0.5, v73
	v_mov_b32_e32 v81, v6
	v_fmac_f32_e32 v81, 0x3f737871, v72
	v_fmac_f32_e32 v6, 0xbf737871, v72
	;; [unrolled: 1-line block ×4, first 2 shown]
	v_add_f32_e32 v36, v39, v57
	v_sub_f32_e32 v61, v70, v61
	v_sub_f32_e32 v70, v71, v74
	v_add_f32_e32 v36, v36, v51
	v_add_f32_e32 v61, v61, v70
	;; [unrolled: 1-line block ×3, first 2 shown]
	v_fmac_f32_e32 v81, 0x3e9e377a, v61
	v_fmac_f32_e32 v6, 0x3e9e377a, v61
	v_add_f32_e32 v61, v36, v60
	v_add_f32_e32 v36, v51, v58
	v_fma_f32 v70, -0.5, v36, v39
	v_sub_f32_e32 v36, v38, v50
	v_mov_b32_e32 v72, v70
	v_fmac_f32_e32 v72, 0x3f737871, v36
	v_sub_f32_e32 v71, v40, v49
	v_sub_f32_e32 v73, v57, v51
	;; [unrolled: 1-line block ×3, first 2 shown]
	v_fmac_f32_e32 v70, 0xbf737871, v36
	v_fmac_f32_e32 v72, 0x3f167918, v71
	v_add_f32_e32 v73, v73, v74
	v_fmac_f32_e32 v70, 0xbf167918, v71
	v_fmac_f32_e32 v72, 0x3e9e377a, v73
	;; [unrolled: 1-line block ×3, first 2 shown]
	v_add_f32_e32 v73, v57, v60
	v_fmac_f32_e32 v39, -0.5, v73
	v_mov_b32_e32 v73, v39
	v_fmac_f32_e32 v73, 0xbf737871, v71
	v_fmac_f32_e32 v39, 0x3f737871, v71
	;; [unrolled: 1-line block ×4, first 2 shown]
	v_add_f32_e32 v36, v41, v38
	v_add_f32_e32 v36, v36, v40
	v_add_f32_e32 v36, v36, v49
	v_add_f32_e32 v54, v63, v82
	v_sub_f32_e32 v63, v63, v82
	v_sub_f32_e32 v74, v51, v57
	v_sub_f32_e32 v75, v58, v60
	v_add_f32_e32 v82, v36, v50
	v_add_f32_e32 v36, v40, v49
	;; [unrolled: 1-line block ×3, first 2 shown]
	v_fma_f32 v75, -0.5, v36, v41
	v_sub_f32_e32 v36, v57, v60
	v_mov_b32_e32 v60, v75
	v_fmac_f32_e32 v60, 0xbf737871, v36
	v_sub_f32_e32 v51, v51, v58
	v_sub_f32_e32 v57, v38, v40
	;; [unrolled: 1-line block ×3, first 2 shown]
	v_fmac_f32_e32 v75, 0x3f737871, v36
	v_fmac_f32_e32 v60, 0xbf167918, v51
	v_add_f32_e32 v57, v57, v58
	v_fmac_f32_e32 v75, 0x3f167918, v51
	v_fmac_f32_e32 v60, 0x3e9e377a, v57
	;; [unrolled: 1-line block ×3, first 2 shown]
	v_add_f32_e32 v57, v38, v50
	v_fmac_f32_e32 v41, -0.5, v57
	v_mov_b32_e32 v58, v41
	v_sub_f32_e32 v38, v40, v38
	v_sub_f32_e32 v40, v49, v50
	v_fmac_f32_e32 v41, 0xbf737871, v51
	v_fmac_f32_e32 v58, 0x3f737871, v51
	v_add_f32_e32 v38, v38, v40
	v_fmac_f32_e32 v41, 0x3f167918, v36
	v_fmac_f32_e32 v39, 0x3e9e377a, v74
	;; [unrolled: 1-line block ×5, first 2 shown]
	v_mul_f32_e32 v36, 0x3e9e377a, v39
	v_mul_f32_e32 v38, 0x3e9e377a, v41
	v_fmac_f32_e32 v73, 0x3e9e377a, v74
	v_fma_f32 v84, v41, s4, -v36
	v_mul_f32_e32 v86, 0xbf167918, v72
	v_fma_f32 v41, v39, s6, -v38
	v_mul_f32_e32 v49, 0x3f167918, v60
	v_add_f32_e32 v51, v4, v84
	v_mul_f32_e32 v36, 0x3f4f1bbd, v70
	v_add_f32_e32 v71, v78, v82
	v_fmac_f32_e32 v86, 0x3f4f1bbd, v60
	v_mul_f32_e32 v60, 0xbf737871, v73
	v_add_f32_e32 v74, v6, v41
	v_sub_f32_e32 v39, v4, v84
	v_sub_f32_e32 v4, v78, v82
	;; [unrolled: 1-line block ×3, first 2 shown]
	v_mov_b32_e32 v41, 2
	v_add_f32_e32 v22, v25, v83
	v_sub_f32_e32 v25, v25, v83
	v_fmac_f32_e32 v49, 0x3f4f1bbd, v72
	v_mul_f32_e32 v83, 0x3f737871, v58
	v_fma_f32 v85, v75, s7, -v36
	v_fmac_f32_e32 v60, 0x3e9e377a, v58
	v_mul_f32_e32 v38, 0x3f4f1bbd, v75
	v_mul_u32_u24_e32 v6, 0x190, v14
	v_lshlrev_b32_sdwa v14, v41, v15 dst_sel:DWORD dst_unused:UNUSED_PAD src0_sel:DWORD src1_sel:BYTE_0
	v_add_f32_e32 v50, v9, v61
	v_add_f32_e32 v57, v37, v49
	v_fmac_f32_e32 v83, 0x3e9e377a, v73
	v_add_f32_e32 v36, v77, v85
	v_add_f32_e32 v73, v81, v60
	v_fma_f32 v58, v70, s5, -v38
	v_sub_f32_e32 v38, v9, v61
	v_sub_f32_e32 v9, v37, v49
	;; [unrolled: 1-line block ×4, first 2 shown]
	v_add3_u32 v81, 0, v6, v14
	ds_write2_b32 v81, v32, v33 offset1:10
	ds_write2_b32 v81, v20, v21 offset0:20 offset1:30
	ds_write2_b32 v81, v7, v19 offset0:40 offset1:50
	ds_write2_b32 v81, v17, v18 offset0:60 offset1:70
	ds_write2_b32 v81, v8, v16 offset0:80 offset1:90
	v_mul_u32_u24_e32 v6, 0x190, v10
	v_lshlrev_b32_sdwa v7, v41, v11 dst_sel:DWORD dst_unused:UNUSED_PAD src0_sel:DWORD src1_sel:BYTE_0
	v_add3_u32 v82, 0, v6, v7
	v_mul_u32_u24_e32 v6, 0x190, v12
	v_lshlrev_b32_e32 v7, 2, v13
	v_add_f32_e32 v40, v79, v83
	v_sub_f32_e32 v37, v79, v83
	v_add3_u32 v83, 0, v6, v7
	v_add_f32_e32 v75, v80, v58
	v_sub_f32_e32 v79, v80, v58
	ds_write2_b32 v82, v30, v31 offset1:10
	ds_write2_b32 v82, v28, v29 offset0:20 offset1:30
	ds_write2_b32 v82, v22, v27 offset0:40 offset1:50
	;; [unrolled: 1-line block ×4, first 2 shown]
	ds_write2_b32 v83, v50, v57 offset1:10
	ds_write2_b32 v83, v40, v51 offset0:20 offset1:30
	ds_write2_b32 v83, v36, v38 offset0:40 offset1:50
	;; [unrolled: 1-line block ×4, first 2 shown]
	v_add_u32_e32 v57, 0x800, v1
	v_add_u32_e32 v36, 0x1000, v1
	;; [unrolled: 1-line block ×11, first 2 shown]
	v_lshl_add_u32 v38, v0, 2, 0
	s_movk_i32 s4, 0x64
	v_add_f32_e32 v72, v76, v86
	v_sub_f32_e32 v76, v76, v86
	s_waitcnt lgkmcnt(0)
	s_barrier
	ds_read2_b32 v[8:9], v1 offset1:120
	ds_read2_b32 v[32:33], v57 offset0:88 offset1:208
	ds_read2_b32 v[14:15], v36 offset0:56 offset1:176
	;; [unrolled: 1-line block ×13, first 2 shown]
	ds_read_b32 v70, v38 offset:1920
	ds_read_b32 v80, v1 offset:13920
	s_waitcnt lgkmcnt(0)
	s_barrier
	ds_write2_b32 v81, v68, v69 offset1:10
	ds_write2_b32 v81, v66, v67 offset0:20 offset1:30
	ds_write2_b32 v81, v5, v46 offset0:40 offset1:50
	ds_write2_b32 v81, v43, v45 offset0:60 offset1:70
	ds_write2_b32 v81, v42, v44 offset0:80 offset1:90
	ds_write2_b32 v82, v47, v48 offset1:10
	ds_write2_b32 v82, v52, v53 offset0:20 offset1:30
	ds_write2_b32 v82, v54, v55 offset0:40 offset1:50
	ds_write2_b32 v82, v56, v59 offset0:60 offset1:70
	ds_write2_b32 v82, v62, v63 offset0:80 offset1:90
	;; [unrolled: 5-line block ×3, first 2 shown]
	v_add_u32_e32 v4, 0xffffff9c, v0
	v_cmp_gt_u32_e32 vcc, s4, v0
	v_cndmask_b32_e32 v42, v4, v0, vcc
	v_mul_i32_i24_e32 v4, 5, v42
	v_mov_b32_e32 v5, 0
	v_lshlrev_b64 v[43:44], 3, v[4:5]
	v_mov_b32_e32 v4, s9
	v_add_co_u32_e32 v46, vcc, s8, v43
	v_addc_co_u32_e32 v47, vcc, v4, v44, vcc
	s_waitcnt lgkmcnt(0)
	s_barrier
	global_load_dwordx4 v[52:55], v[46:47], off offset:720
	global_load_dwordx4 v[66:69], v[46:47], off offset:736
	v_mov_b32_e32 v4, 41
	v_mul_lo_u16_sdwa v4, v35, v4 dst_sel:DWORD dst_unused:UNUSED_PAD src0_sel:BYTE_0 src1_sel:DWORD
	v_lshrrev_b16_e32 v45, 12, v4
	v_mul_lo_u16_e32 v4, 0x64, v45
	v_sub_u16_e32 v44, v35, v4
	v_mov_b32_e32 v4, 5
	v_mul_u32_u24_sdwa v4, v44, v4 dst_sel:DWORD dst_unused:UNUSED_PAD src0_sel:BYTE_0 src1_sel:DWORD
	v_lshlrev_b32_e32 v4, 3, v4
	global_load_dwordx4 v[71:74], v4, s[8:9] offset:720
	global_load_dwordx4 v[75:78], v4, s[8:9] offset:736
	global_load_dwordx2 v[62:63], v[46:47], off offset:752
	global_load_dwordx2 v[105:106], v4, s[8:9] offset:752
	v_lshrrev_b16_e32 v4, 2, v34
	v_mul_u32_u24_e32 v4, 0x147b, v4
	v_lshrrev_b32_e32 v4, 17, v4
	v_mul_lo_u16_e32 v35, 0x64, v4
	v_sub_u16_e32 v43, v34, v35
	v_mul_u32_u24_e32 v34, 5, v43
	v_lshlrev_b32_e32 v46, 3, v34
	global_load_dwordx4 v[81:84], v46, s[8:9] offset:720
	global_load_dwordx4 v[85:88], v46, s[8:9] offset:736
	ds_read2_b32 v[47:48], v57 offset0:88 offset1:208
	ds_read2_b32 v[34:35], v1 offset1:120
	ds_read2_b32 v[107:108], v36 offset0:56 offset1:176
	ds_read2_b32 v[109:110], v64 offset0:8 offset1:128
	;; [unrolled: 1-line block ×3, first 2 shown]
	global_load_dwordx2 v[113:114], v46, s[8:9] offset:752
	v_add_u32_e32 v59, 0x1e0, v0
	s_movk_i32 s7, 0x63
	v_cmp_lt_u32_e32 vcc, s7, v0
	v_lshlrev_b32_e32 v42, 2, v42
	v_mul_u32_u24_e32 v4, 0x960, v4
	s_movk_i32 s5, 0x2000
	s_movk_i32 s4, 0x3000
	;; [unrolled: 1-line block ×3, first 2 shown]
	s_waitcnt vmcnt(8)
	v_mul_f32_e32 v118, v32, v53
	s_waitcnt lgkmcnt(4)
	v_mul_f32_e32 v56, v47, v53
	v_fmac_f32_e32 v118, v47, v52
	v_add_u16_e32 v47, 0x168, v0
	v_fma_f32 v117, v32, v52, -v56
	v_lshrrev_b16_e32 v32, 2, v47
	v_mul_u32_u24_e32 v32, 0x147b, v32
	v_lshrrev_b32_e32 v32, 17, v32
	v_mul_lo_u16_e32 v52, 0x64, v32
	v_sub_u16_e32 v46, v47, v52
	s_waitcnt lgkmcnt(2)
	v_mul_f32_e32 v52, v108, v55
	v_fma_f32 v119, v15, v54, -v52
	v_mul_f32_e32 v55, v15, v55
	s_waitcnt vmcnt(7) lgkmcnt(1)
	v_mul_f32_e32 v15, v109, v67
	v_mul_u32_u24_e32 v47, 5, v46
	v_fma_f32 v120, v30, v66, -v15
	v_lshrrev_b16_e32 v15, 2, v59
	v_lshlrev_b32_e32 v47, 3, v47
	v_mul_u32_u24_e32 v15, 0x147b, v15
	global_load_dwordx4 v[89:92], v47, s[8:9] offset:720
	v_lshrrev_b32_e32 v15, 17, v15
	global_load_dwordx2 v[115:116], v47, s[8:9] offset:752
	global_load_dwordx4 v[93:96], v47, s[8:9] offset:736
	v_mul_lo_u16_e32 v47, 0x64, v15
	v_sub_u16_e32 v47, v59, v47
	v_mul_u32_u24_e32 v52, 5, v47
	v_lshlrev_b32_e32 v56, 3, v52
	global_load_dwordx4 v[97:100], v56, s[8:9] offset:736
	global_load_dwordx4 v[101:104], v56, s[8:9] offset:720
	v_mul_f32_e32 v121, v30, v67
	v_fmac_f32_e32 v55, v108, v54
	v_fmac_f32_e32 v121, v109, v66
	ds_read2_b32 v[52:53], v58 offset0:56 offset1:176
	ds_read2_b32 v[66:67], v60 offset0:40 offset1:160
	global_load_dwordx2 v[108:109], v56, s[8:9] offset:752
	s_waitcnt lgkmcnt(2)
	v_mul_f32_e32 v30, v112, v69
	v_fma_f32 v122, v11, v68, -v30
	v_mul_f32_e32 v11, v11, v69
	v_fmac_f32_e32 v11, v112, v68
	ds_read2_b32 v[68:69], v61 offset0:88 offset1:208
	s_waitcnt vmcnt(12)
	v_mul_f32_e32 v30, v48, v72
	v_fma_f32 v54, v33, v71, -v30
	s_waitcnt lgkmcnt(1)
	v_mul_f32_e32 v30, v66, v74
	v_mul_f32_e32 v112, v33, v72
	v_fma_f32 v123, v26, v73, -v30
	v_mul_f32_e32 v124, v26, v74
	s_waitcnt vmcnt(11)
	v_mul_f32_e32 v26, v110, v76
	v_fmac_f32_e32 v112, v48, v71
	v_fma_f32 v125, v31, v75, -v26
	v_mul_f32_e32 v126, v31, v76
	s_waitcnt lgkmcnt(0)
	v_mul_f32_e32 v26, v68, v78
	ds_read2_b32 v[71:72], v51 offset0:72 offset1:192
	v_fmac_f32_e32 v126, v110, v75
	v_fma_f32 v110, v24, v77, -v26
	v_mul_f32_e32 v127, v24, v78
	s_waitcnt vmcnt(10)
	v_mul_f32_e32 v24, v52, v63
	s_waitcnt vmcnt(9)
	v_mul_f32_e32 v26, v53, v106
	v_fmac_f32_e32 v127, v68, v77
	v_fma_f32 v24, v28, v62, -v24
	v_mul_f32_e32 v77, v28, v63
	v_fma_f32 v128, v29, v105, -v26
	v_mul_f32_e32 v106, v29, v106
	ds_read2_b32 v[28:29], v49 offset0:120 offset1:240
	v_fmac_f32_e32 v124, v66, v73
	ds_read2_b32 v[73:74], v50 offset0:40 offset1:160
	s_waitcnt vmcnt(8)
	v_mul_f32_e32 v26, v67, v84
	v_fma_f32 v56, v27, v83, -v26
	v_mul_f32_e32 v66, v27, v84
	ds_read2_b32 v[26:27], v39 offset0:24 offset1:144
	s_waitcnt lgkmcnt(3)
	v_mul_f32_e32 v33, v71, v82
	v_fmac_f32_e32 v77, v52, v62
	v_fmac_f32_e32 v106, v53, v105
	v_fma_f32 v52, v22, v81, -v33
	v_mul_f32_e32 v53, v22, v82
	s_waitcnt vmcnt(7)
	v_mul_f32_e32 v22, v69, v88
	ds_read2_b32 v[75:76], v40 offset0:72 offset1:192
	v_fma_f32 v84, v25, v87, -v22
	s_waitcnt lgkmcnt(3)
	v_mul_f32_e32 v22, v28, v86
	v_fmac_f32_e32 v66, v67, v83
	v_fma_f32 v62, v20, v85, -v22
	v_mul_f32_e32 v67, v20, v86
	s_waitcnt vmcnt(6) lgkmcnt(2)
	v_mul_f32_e32 v20, v73, v114
	v_fmac_f32_e32 v53, v71, v81
	v_fma_f32 v81, v18, v113, -v20
	v_mul_f32_e32 v83, v18, v114
	v_mul_f32_e32 v105, v25, v88
	v_fmac_f32_e32 v105, v69, v87
	ds_read2_b32 v[30:31], v65 offset0:112 offset1:232
	ds_read_b32 v82, v38 offset:1920
	ds_read_b32 v25, v1 offset:13920
	v_fmac_f32_e32 v83, v73, v113
	v_fmac_f32_e32 v67, v28, v85
	s_waitcnt vmcnt(0) lgkmcnt(0)
	s_barrier
	v_mul_f32_e32 v18, v72, v90
	v_fma_f32 v20, v23, v89, -v18
	v_mul_f32_e32 v18, v26, v92
	v_fma_f32 v69, v16, v91, -v18
	v_mul_f32_e32 v71, v16, v92
	v_mul_f32_e32 v16, v29, v94
	;; [unrolled: 1-line block ×3, first 2 shown]
	v_fma_f32 v33, v21, v93, -v16
	v_mul_f32_e32 v16, v75, v96
	v_fmac_f32_e32 v22, v72, v89
	v_fma_f32 v72, v12, v95, -v16
	v_mul_f32_e32 v73, v12, v96
	v_mul_f32_e32 v12, v74, v116
	v_fma_f32 v63, v19, v115, -v12
	v_mul_f32_e32 v12, v107, v102
	v_fma_f32 v16, v14, v101, -v12
	;; [unrolled: 2-line block ×3, first 2 shown]
	v_mul_f32_e32 v12, v111, v98
	v_fmac_f32_e32 v71, v26, v91
	v_mul_f32_e32 v48, v21, v94
	v_fma_f32 v91, v10, v97, -v12
	v_mul_f32_e32 v92, v10, v98
	v_mul_f32_e32 v10, v76, v100
	v_add_f32_e32 v12, v119, v122
	v_fmac_f32_e32 v48, v29, v93
	v_mul_f32_e32 v79, v17, v104
	v_fma_f32 v93, v13, v99, -v10
	v_mul_f32_e32 v10, v25, v109
	v_fma_f32 v17, -0.5, v12, v8
	v_fmac_f32_e32 v73, v75, v95
	v_mul_f32_e32 v68, v19, v116
	v_fma_f32 v95, v80, v108, -v10
	v_add_f32_e32 v10, v8, v119
	v_sub_f32_e32 v8, v55, v11
	v_mov_b32_e32 v19, v17
	v_fmac_f32_e32 v19, 0x3f5db3d7, v8
	v_fmac_f32_e32 v17, 0xbf5db3d7, v8
	v_add_f32_e32 v8, v34, v55
	v_add_f32_e32 v21, v8, v11
	;; [unrolled: 1-line block ×3, first 2 shown]
	v_mul_f32_e32 v80, v80, v109
	v_fma_f32 v23, -0.5, v8, v34
	v_fmac_f32_e32 v80, v25, v108
	v_sub_f32_e32 v8, v119, v122
	v_mov_b32_e32 v25, v23
	v_fmac_f32_e32 v25, 0xbf5db3d7, v8
	v_fmac_f32_e32 v23, 0x3f5db3d7, v8
	v_add_f32_e32 v8, v117, v120
	v_add_f32_e32 v11, v8, v24
	;; [unrolled: 1-line block ×3, first 2 shown]
	v_fmac_f32_e32 v117, -0.5, v8
	v_sub_f32_e32 v8, v121, v77
	v_mov_b32_e32 v12, v117
	v_fmac_f32_e32 v12, 0x3f5db3d7, v8
	v_fmac_f32_e32 v117, 0xbf5db3d7, v8
	v_add_f32_e32 v8, v118, v121
	v_add_f32_e32 v26, v8, v77
	v_add_f32_e32 v8, v121, v77
	v_fmac_f32_e32 v118, -0.5, v8
	v_sub_f32_e32 v8, v120, v24
	v_mov_b32_e32 v24, v118
	v_fmac_f32_e32 v24, 0xbf5db3d7, v8
	v_fmac_f32_e32 v79, v27, v103
	v_mul_f32_e32 v27, 0x3f5db3d7, v24
	v_add_f32_e32 v10, v10, v122
	v_fmac_f32_e32 v118, 0x3f5db3d7, v8
	v_fmac_f32_e32 v27, 0.5, v12
	v_mul_f32_e32 v34, -0.5, v117
	v_fmac_f32_e32 v68, v74, v115
	v_mul_f32_e32 v18, v14, v102
	v_mul_f32_e32 v94, v13, v100
	v_add_f32_e32 v13, v10, v11
	v_add_f32_e32 v14, v19, v27
	v_fmac_f32_e32 v34, 0x3f5db3d7, v118
	v_mul_f32_e32 v55, 0xbf5db3d7, v12
	v_mul_f32_e32 v74, -0.5, v118
	v_sub_f32_e32 v12, v10, v11
	v_sub_f32_e32 v10, v19, v27
	v_add_f32_e32 v19, v123, v110
	v_add_f32_e32 v8, v17, v34
	v_fmac_f32_e32 v74, 0xbf5db3d7, v117
	v_sub_f32_e32 v11, v17, v34
	v_add_f32_e32 v17, v9, v123
	v_fmac_f32_e32 v9, -0.5, v19
	v_add_f32_e32 v28, v21, v26
	v_fmac_f32_e32 v55, 0.5, v24
	v_add_f32_e32 v24, v23, v74
	v_sub_f32_e32 v27, v21, v26
	v_sub_f32_e32 v26, v23, v74
	;; [unrolled: 1-line block ×3, first 2 shown]
	v_mov_b32_e32 v21, v9
	v_add_f32_e32 v23, v124, v127
	v_fmac_f32_e32 v21, 0x3f5db3d7, v19
	v_fmac_f32_e32 v9, 0xbf5db3d7, v19
	v_add_f32_e32 v19, v35, v124
	v_fmac_f32_e32 v35, -0.5, v23
	v_add_f32_e32 v29, v25, v55
	v_sub_f32_e32 v25, v25, v55
	v_sub_f32_e32 v23, v123, v110
	v_mov_b32_e32 v34, v35
	v_add_f32_e32 v55, v125, v128
	v_fmac_f32_e32 v34, 0xbf5db3d7, v23
	v_fmac_f32_e32 v35, 0x3f5db3d7, v23
	v_add_f32_e32 v23, v54, v125
	v_fmac_f32_e32 v54, -0.5, v55
	v_sub_f32_e32 v55, v126, v106
	v_mov_b32_e32 v74, v54
	v_add_f32_e32 v75, v126, v106
	v_fmac_f32_e32 v74, 0x3f5db3d7, v55
	v_fmac_f32_e32 v54, 0xbf5db3d7, v55
	v_add_f32_e32 v55, v112, v126
	v_fmac_f32_e32 v112, -0.5, v75
	v_fmac_f32_e32 v94, v76, v99
	v_add_f32_e32 v17, v17, v110
	v_add_f32_e32 v23, v23, v128
	v_sub_f32_e32 v75, v125, v128
	v_mov_b32_e32 v76, v112
	v_fmac_f32_e32 v76, 0xbf5db3d7, v75
	v_fmac_f32_e32 v112, 0x3f5db3d7, v75
	v_add_f32_e32 v85, v17, v23
	v_mul_f32_e32 v90, -0.5, v54
	v_mul_f32_e32 v96, 0xbf5db3d7, v74
	v_sub_f32_e32 v89, v17, v23
	v_add_f32_e32 v17, v56, v84
	v_fmac_f32_e32 v92, v111, v97
	v_fmac_f32_e32 v90, 0x3f5db3d7, v112
	v_fmac_f32_e32 v96, 0.5, v76
	v_mul_f32_e32 v97, -0.5, v112
	v_fma_f32 v17, -0.5, v17, v6
	v_mul_f32_e32 v77, 0x3f5db3d7, v76
	v_add_f32_e32 v87, v9, v90
	v_add_f32_e32 v76, v34, v96
	v_fmac_f32_e32 v97, 0xbf5db3d7, v54
	v_sub_f32_e32 v90, v9, v90
	v_sub_f32_e32 v54, v34, v96
	v_add_f32_e32 v9, v6, v56
	v_sub_f32_e32 v6, v66, v105
	v_mov_b32_e32 v34, v17
	v_add_f32_e32 v19, v19, v127
	v_add_f32_e32 v55, v55, v106
	v_fmac_f32_e32 v77, 0.5, v74
	v_fmac_f32_e32 v34, 0x3f5db3d7, v6
	v_fmac_f32_e32 v17, 0xbf5db3d7, v6
	v_add_f32_e32 v6, v30, v66
	v_add_f32_e32 v86, v21, v77
	;; [unrolled: 1-line block ×4, first 2 shown]
	v_sub_f32_e32 v88, v21, v77
	v_sub_f32_e32 v77, v19, v55
	;; [unrolled: 1-line block ×3, first 2 shown]
	v_add_f32_e32 v35, v6, v105
	v_add_f32_e32 v6, v66, v105
	v_fma_f32 v30, -0.5, v6, v30
	v_add_f32_e32 v9, v9, v84
	v_sub_f32_e32 v6, v56, v84
	v_mov_b32_e32 v84, v30
	v_fmac_f32_e32 v84, 0xbf5db3d7, v6
	v_fmac_f32_e32 v30, 0x3f5db3d7, v6
	v_add_f32_e32 v6, v52, v62
	v_add_f32_e32 v19, v6, v81
	;; [unrolled: 1-line block ×3, first 2 shown]
	v_fmac_f32_e32 v52, -0.5, v6
	v_sub_f32_e32 v6, v67, v83
	v_mov_b32_e32 v66, v52
	v_fmac_f32_e32 v66, 0x3f5db3d7, v6
	v_fmac_f32_e32 v52, 0xbf5db3d7, v6
	v_add_f32_e32 v6, v53, v67
	v_add_f32_e32 v96, v6, v83
	;; [unrolled: 1-line block ×3, first 2 shown]
	v_fmac_f32_e32 v53, -0.5, v6
	v_sub_f32_e32 v6, v62, v81
	v_mov_b32_e32 v62, v53
	v_fmac_f32_e32 v62, 0xbf5db3d7, v6
	v_fmac_f32_e32 v53, 0x3f5db3d7, v6
	v_mul_f32_e32 v67, 0x3f5db3d7, v62
	v_mul_f32_e32 v81, -0.5, v52
	v_fmac_f32_e32 v67, 0.5, v66
	v_fmac_f32_e32 v81, 0x3f5db3d7, v53
	v_mul_f32_e32 v53, -0.5, v53
	v_add_f32_e32 v21, v9, v19
	v_add_f32_e32 v23, v34, v67
	v_mul_f32_e32 v83, 0xbf5db3d7, v66
	v_fmac_f32_e32 v53, 0xbf5db3d7, v52
	v_sub_f32_e32 v19, v9, v19
	v_sub_f32_e32 v9, v34, v67
	v_add_f32_e32 v34, v69, v72
	v_fmac_f32_e32 v83, 0.5, v62
	v_add_f32_e32 v62, v30, v53
	v_sub_f32_e32 v53, v30, v53
	v_add_f32_e32 v30, v7, v69
	v_fmac_f32_e32 v7, -0.5, v34
	v_add_f32_e32 v6, v17, v81
	v_sub_f32_e32 v17, v17, v81
	v_sub_f32_e32 v34, v71, v73
	v_mov_b32_e32 v81, v7
	v_fmac_f32_e32 v81, 0x3f5db3d7, v34
	v_fmac_f32_e32 v7, 0xbf5db3d7, v34
	v_add_f32_e32 v34, v31, v71
	v_add_f32_e32 v56, v35, v96
	v_sub_f32_e32 v67, v35, v96
	v_add_f32_e32 v96, v34, v73
	v_add_f32_e32 v34, v71, v73
	v_fmac_f32_e32 v31, -0.5, v34
	v_add_f32_e32 v30, v30, v72
	v_sub_f32_e32 v34, v69, v72
	v_mov_b32_e32 v72, v31
	v_fmac_f32_e32 v72, 0xbf5db3d7, v34
	v_fmac_f32_e32 v31, 0x3f5db3d7, v34
	v_add_f32_e32 v34, v20, v33
	v_add_f32_e32 v71, v34, v63
	;; [unrolled: 1-line block ×3, first 2 shown]
	v_fmac_f32_e32 v20, -0.5, v34
	v_sub_f32_e32 v34, v48, v68
	v_mov_b32_e32 v69, v20
	v_fmac_f32_e32 v69, 0x3f5db3d7, v34
	v_fmac_f32_e32 v20, 0xbf5db3d7, v34
	v_add_f32_e32 v34, v22, v48
	v_add_f32_e32 v73, v34, v68
	;; [unrolled: 1-line block ×3, first 2 shown]
	v_fmac_f32_e32 v22, -0.5, v34
	v_sub_f32_e32 v33, v33, v63
	v_mov_b32_e32 v48, v22
	v_fmac_f32_e32 v48, 0xbf5db3d7, v33
	v_add_f32_e32 v66, v84, v83
	v_sub_f32_e32 v52, v84, v83
	v_fmac_f32_e32 v22, 0x3f5db3d7, v33
	v_mul_f32_e32 v83, 0x3f5db3d7, v48
	v_mul_f32_e32 v97, -0.5, v20
	v_fmac_f32_e32 v83, 0.5, v69
	v_fmac_f32_e32 v97, 0x3f5db3d7, v22
	v_mul_f32_e32 v98, 0xbf5db3d7, v69
	v_add_f32_e32 v35, v81, v83
	v_add_f32_e32 v34, v7, v97
	v_fmac_f32_e32 v98, 0.5, v48
	v_mul_f32_e32 v22, -0.5, v22
	v_sub_f32_e32 v48, v81, v83
	v_sub_f32_e32 v83, v7, v97
	v_add_f32_e32 v7, v70, v78
	v_fmac_f32_e32 v22, 0xbf5db3d7, v20
	v_add_f32_e32 v20, v7, v93
	v_add_f32_e32 v7, v78, v93
	v_fmac_f32_e32 v70, -0.5, v7
	v_add_f32_e32 v33, v30, v71
	v_add_f32_e32 v63, v96, v73
	v_add_f32_e32 v69, v31, v22
	v_sub_f32_e32 v84, v30, v71
	v_sub_f32_e32 v71, v96, v73
	;; [unrolled: 1-line block ×4, first 2 shown]
	v_mov_b32_e32 v31, v70
	v_fmac_f32_e32 v31, 0x3f5db3d7, v7
	v_fmac_f32_e32 v70, 0xbf5db3d7, v7
	v_add_f32_e32 v7, v82, v79
	v_add_f32_e32 v81, v7, v94
	v_add_f32_e32 v7, v79, v94
	v_fmac_f32_e32 v82, -0.5, v7
	v_sub_f32_e32 v7, v78, v93
	v_mov_b32_e32 v93, v82
	v_fmac_f32_e32 v93, 0xbf5db3d7, v7
	v_fmac_f32_e32 v82, 0x3f5db3d7, v7
	v_add_f32_e32 v7, v16, v91
	v_add_f32_e32 v94, v7, v95
	;; [unrolled: 1-line block ×3, first 2 shown]
	v_fmac_f32_e32 v16, -0.5, v7
	v_fmac_f32_e32 v18, v107, v101
	v_sub_f32_e32 v7, v92, v80
	v_mov_b32_e32 v79, v16
	v_fmac_f32_e32 v79, 0x3f5db3d7, v7
	v_fmac_f32_e32 v16, 0xbf5db3d7, v7
	v_add_f32_e32 v7, v18, v92
	v_add_f32_e32 v96, v7, v80
	v_add_f32_e32 v7, v92, v80
	v_fmac_f32_e32 v18, -0.5, v7
	v_sub_f32_e32 v7, v91, v95
	v_mov_b32_e32 v80, v18
	v_fmac_f32_e32 v80, 0xbf5db3d7, v7
	v_fmac_f32_e32 v18, 0x3f5db3d7, v7
	v_mul_f32_e32 v91, 0x3f5db3d7, v80
	v_fmac_f32_e32 v91, 0.5, v79
	v_mul_f32_e32 v97, -0.5, v18
	v_add_f32_e32 v30, v31, v91
	v_mul_f32_e32 v92, -0.5, v16
	v_fmac_f32_e32 v97, 0xbf5db3d7, v16
	v_sub_f32_e32 v16, v31, v91
	v_mov_b32_e32 v31, 0x960
	v_cndmask_b32_e32 v31, 0, v31, vcc
	v_fmac_f32_e32 v92, 0x3f5db3d7, v18
	v_add3_u32 v42, 0, v31, v42
	v_add_f32_e32 v7, v70, v92
	v_sub_f32_e32 v18, v70, v92
	v_add_u32_e32 v91, 0x200, v42
	v_add_u32_e32 v92, 0x400, v42
	ds_write2_b32 v91, v8, v12 offset0:72 offset1:172
	ds_write2_b32 v92, v10, v11 offset0:144 offset1:244
	v_mul_u32_u24_e32 v8, 0x960, v45
	v_lshlrev_b32_sdwa v10, v41, v44 dst_sel:DWORD dst_unused:UNUSED_PAD src0_sel:DWORD src1_sel:BYTE_0
	v_add3_u32 v41, 0, v8, v10
	v_lshlrev_b32_e32 v8, 2, v43
	v_add3_u32 v4, 0, v4, v8
	ds_write2_b32 v42, v13, v14 offset1:100
	ds_write2_b32 v41, v85, v86 offset1:100
	v_add_u32_e32 v44, 0x200, v41
	v_add_u32_e32 v85, 0x400, v41
	;; [unrolled: 1-line block ×3, first 2 shown]
	ds_write2_b32 v44, v87, v89 offset0:72 offset1:172
	ds_write2_b32 v85, v88, v90 offset0:144 offset1:244
	;; [unrolled: 1-line block ×3, first 2 shown]
	v_mul_u32_u24_e32 v6, 0x960, v32
	v_lshlrev_b32_e32 v8, 2, v46
	v_mul_f32_e32 v95, 0xbf5db3d7, v79
	v_add3_u32 v87, 0, v6, v8
	v_mul_u32_u24_e32 v6, 0x960, v15
	v_lshlrev_b32_e32 v8, 2, v47
	v_fmac_f32_e32 v95, 0.5, v80
	v_add3_u32 v90, 0, v6, v8
	v_add_f32_e32 v22, v20, v94
	v_add_f32_e32 v78, v81, v96
	v_add_f32_e32 v79, v93, v95
	v_sub_f32_e32 v20, v20, v94
	v_sub_f32_e32 v70, v81, v96
	;; [unrolled: 1-line block ×3, first 2 shown]
	v_add_u32_e32 v86, 0x400, v4
	v_add_u32_e32 v88, 0x200, v87
	;; [unrolled: 1-line block ×5, first 2 shown]
	ds_write2_b32 v4, v21, v23 offset1:100
	ds_write2_b32 v86, v9, v17 offset0:144 offset1:244
	ds_write2_b32 v87, v33, v35 offset1:100
	ds_write2_b32 v88, v34, v84 offset0:72 offset1:172
	ds_write2_b32 v89, v48, v83 offset0:144 offset1:244
	ds_write2_b32 v90, v22, v30 offset1:100
	ds_write2_b32 v93, v7, v20 offset0:72 offset1:172
	ds_write2_b32 v94, v16, v18 offset0:144 offset1:244
	s_waitcnt lgkmcnt(0)
	s_barrier
	ds_read2_b32 v[6:7], v1 offset1:120
	ds_read2_b32 v[8:9], v57 offset0:88 offset1:208
	ds_read2_b32 v[16:17], v36 offset0:56 offset1:176
	;; [unrolled: 1-line block ×13, first 2 shown]
	ds_read_b32 v83, v38 offset:1920
	ds_read_b32 v84, v1 offset:13920
	v_add_f32_e32 v68, v72, v98
	v_sub_f32_e32 v72, v72, v98
	v_add_f32_e32 v80, v82, v97
	v_sub_f32_e32 v82, v82, v97
	s_waitcnt lgkmcnt(0)
	s_barrier
	ds_write2_b32 v42, v28, v29 offset1:100
	ds_write2_b32 v91, v24, v27 offset0:72 offset1:172
	ds_write2_b32 v92, v25, v26 offset0:144 offset1:244
	ds_write2_b32 v41, v75, v76 offset1:100
	ds_write2_b32 v44, v74, v77 offset0:72 offset1:172
	ds_write2_b32 v85, v54, v55 offset0:144 offset1:244
	;; [unrolled: 3-line block ×5, first 2 shown]
	s_waitcnt lgkmcnt(0)
	s_barrier
	s_and_saveexec_b64 s[10:11], s[0:1]
	s_cbranch_execz .LBB0_13
; %bb.12:
	v_mul_u32_u24_e32 v4, 5, v59
	v_lshlrev_b32_e32 v4, 3, v4
	v_mov_b32_e32 v62, s9
	v_add_co_u32_e32 v4, vcc, s8, v4
	v_addc_co_u32_e32 v41, vcc, 0, v62, vcc
	v_add_co_u32_e32 v28, vcc, 0x1270, v4
	v_addc_co_u32_e32 v29, vcc, 0, v41, vcc
	global_load_dwordx2 v[74:75], v[28:29], off offset:32
	global_load_dwordx4 v[24:27], v[28:29], off offset:16
	v_add_co_u32_e32 v28, vcc, 0x1000, v4
	v_mov_b32_e32 v4, 0xfffffda8
	v_addc_co_u32_e32 v29, vcc, 0, v41, vcc
	v_mad_u32_u24 v4, v59, 5, v4
	global_load_dwordx4 v[52:55], v[28:29], off offset:624
	v_lshlrev_b64 v[28:29], 3, v[4:5]
	ds_read2_b32 v[76:77], v39 offset0:24 offset1:144
	ds_read2_b32 v[78:79], v40 offset0:72 offset1:192
	v_add_co_u32_e32 v4, vcc, s8, v28
	v_addc_co_u32_e32 v39, vcc, v62, v29, vcc
	v_add_co_u32_e32 v28, vcc, s6, v4
	s_movk_i32 s0, 0x1270
	v_addc_co_u32_e32 v29, vcc, 0, v39, vcc
	global_load_dwordx4 v[66:69], v[28:29], off offset:624
	v_add_co_u32_e32 v28, vcc, s0, v4
	v_addc_co_u32_e32 v29, vcc, 0, v39, vcc
	global_load_dwordx4 v[70:73], v[28:29], off offset:16
	ds_read2_b32 v[43:44], v36 offset0:56 offset1:176
	ds_read2_b32 v[41:42], v37 offset0:104 offset1:224
	ds_read_b32 v4, v38 offset:1920
	ds_read_b32 v36, v1 offset:13920
	global_load_dwordx2 v[80:81], v[28:29], off offset:32
	s_movk_i32 s1, 0x5000
	s_waitcnt vmcnt(5) lgkmcnt(0)
	v_mul_f32_e32 v38, v75, v36
	s_waitcnt vmcnt(4)
	v_mul_f32_e32 v28, v27, v79
	v_mul_f32_e32 v37, v26, v79
	v_mul_f32_e32 v29, v25, v41
	v_mul_f32_e32 v39, v24, v41
	v_mul_f32_e32 v36, v74, v36
	v_fma_f32 v28, v46, v26, -v28
	v_fmac_f32_e32 v37, v46, v27
	s_waitcnt vmcnt(3)
	v_mul_f32_e32 v26, v54, v77
	v_mul_f32_e32 v27, v53, v43
	v_fma_f32 v41, v14, v24, -v29
	v_fma_f32 v38, v84, v74, -v38
	v_fmac_f32_e32 v39, v14, v25
	v_fmac_f32_e32 v36, v84, v75
	v_mul_f32_e32 v14, v52, v43
	v_mul_f32_e32 v40, v55, v77
	v_fmac_f32_e32 v26, v48, v55
	v_fma_f32 v43, v16, v52, -v27
	v_add_f32_e32 v24, v41, v38
	v_fmac_f32_e32 v14, v16, v53
	v_add_f32_e32 v16, v39, v36
	v_fma_f32 v40, v48, v54, -v40
	v_sub_f32_e32 v25, v39, v36
	v_add_f32_e32 v29, v26, v37
	v_fma_f32 v48, -0.5, v24, v43
	v_fma_f32 v16, -0.5, v16, v14
	v_add_f32_e32 v24, v26, v4
	v_sub_f32_e32 v27, v41, v38
	v_add_f32_e32 v14, v14, v39
	v_fma_f32 v4, -0.5, v29, v4
	v_mov_b32_e32 v39, v48
	v_mov_b32_e32 v52, v16
	v_fmac_f32_e32 v48, 0x3f5db3d7, v25
	v_add_f32_e32 v53, v37, v24
	v_add_f32_e32 v24, v40, v28
	v_sub_f32_e32 v46, v40, v28
	v_fmac_f32_e32 v16, 0xbf5db3d7, v27
	v_add_f32_e32 v14, v14, v36
	v_mov_b32_e32 v36, v4
	v_fmac_f32_e32 v39, 0xbf5db3d7, v25
	v_fmac_f32_e32 v52, 0x3f5db3d7, v27
	v_mul_f32_e32 v54, 0xbf5db3d7, v48
	v_fma_f32 v55, -0.5, v24, v83
	v_sub_f32_e32 v26, v26, v37
	v_add_f32_e32 v37, v83, v40
	ds_read2_b32 v[82:83], v65 offset0:112 offset1:232
	v_fmac_f32_e32 v4, 0xbf5db3d7, v46
	v_fmac_f32_e32 v36, 0x3f5db3d7, v46
	v_mul_f32_e32 v46, -0.5, v52
	v_fmac_f32_e32 v54, 0.5, v16
	v_mul_f32_e32 v63, -0.5, v39
	v_sub_f32_e32 v29, v53, v14
	v_fmac_f32_e32 v46, 0xbf5db3d7, v39
	v_sub_f32_e32 v27, v4, v54
	v_fmac_f32_e32 v63, 0x3f5db3d7, v52
	v_mul_f32_e32 v16, 0x3f5db3d7, v16
	v_add_f32_e32 v40, v37, v28
	v_add_f32_e32 v28, v43, v41
	;; [unrolled: 1-line block ×4, first 2 shown]
	s_waitcnt vmcnt(2)
	v_mul_f32_e32 v4, v69, v76
	v_mul_f32_e32 v52, v68, v76
	s_waitcnt vmcnt(1)
	v_mul_f32_e32 v53, v72, v78
	v_mov_b32_e32 v56, v55
	v_fmac_f32_e32 v55, 0x3f5db3d7, v26
	v_fmac_f32_e32 v16, 0.5, v48
	v_fma_f32 v14, v47, v68, -v4
	v_mul_f32_e32 v4, v73, v78
	v_fmac_f32_e32 v52, v47, v69
	v_fmac_f32_e32 v53, v45, v73
	;; [unrolled: 1-line block ×3, first 2 shown]
	v_sub_f32_e32 v26, v55, v16
	v_add_f32_e32 v43, v28, v38
	v_add_f32_e32 v38, v55, v16
	v_fma_f32 v16, v45, v72, -v4
	v_add_f32_e32 v4, v52, v53
	s_waitcnt lgkmcnt(0)
	v_fma_f32 v54, -0.5, v4, v83
	v_mov_b32_e32 v4, 0xfffffb50
	v_mad_u32_u24 v4, v59, 5, v4
	v_sub_f32_e32 v25, v36, v46
	v_add_f32_e32 v37, v36, v46
	v_lshlrev_b64 v[45:46], 3, v[4:5]
	ds_read2_b32 v[84:85], v51 offset0:72 offset1:192
	v_add_co_u32_e32 v4, vcc, s8, v45
	v_addc_co_u32_e32 v48, vcc, v62, v46, vcc
	v_add_co_u32_e32 v45, vcc, s0, v4
	v_addc_co_u32_e32 v46, vcc, 0, v48, vcc
	;; [unrolled: 2-line block ×3, first 2 shown]
	global_load_dwordx4 v[72:75], v[47:48], off offset:624
	global_load_dwordx2 v[86:87], v[45:46], off offset:32
	global_load_dwordx4 v[76:79], v[45:46], off offset:16
	ds_read2_b32 v[88:89], v49 offset0:120 offset1:240
	ds_read2_b32 v[90:91], v50 offset0:40 offset1:160
	s_waitcnt lgkmcnt(2)
	v_mul_f32_e32 v45, v67, v85
	v_fma_f32 v49, v31, v66, -v45
	v_mul_f32_e32 v50, v66, v85
	s_waitcnt lgkmcnt(1)
	v_mul_f32_e32 v45, v71, v89
	v_fma_f32 v51, v35, v70, -v45
	s_waitcnt vmcnt(3) lgkmcnt(0)
	v_mul_f32_e32 v45, v81, v91
	v_fma_f32 v55, v33, v80, -v45
	v_add_f32_e32 v45, v51, v55
	v_fma_f32 v47, -0.5, v45, v49
	v_mul_f32_e32 v45, v70, v89
	v_fmac_f32_e32 v45, v35, v71
	v_mul_f32_e32 v35, v80, v91
	v_fmac_f32_e32 v35, v33, v81
	v_fmac_f32_e32 v50, v31, v67
	v_add_f32_e32 v31, v45, v35
	v_fma_f32 v31, -0.5, v31, v50
	v_sub_f32_e32 v24, v56, v63
	v_add_f32_e32 v36, v56, v63
	v_sub_f32_e32 v33, v45, v35
	v_sub_f32_e32 v48, v51, v55
	v_mov_b32_e32 v63, v31
	v_add_f32_e32 v45, v50, v45
	v_sub_f32_e32 v28, v40, v43
	v_add_f32_e32 v40, v40, v43
	v_sub_f32_e32 v43, v14, v16
	v_mov_b32_e32 v4, v54
	v_mov_b32_e32 v56, v47
	v_fmac_f32_e32 v63, 0x3f5db3d7, v48
	v_add_f32_e32 v35, v45, v35
	v_add_f32_e32 v45, v14, v16
	v_fmac_f32_e32 v4, 0x3f5db3d7, v43
	v_fmac_f32_e32 v56, 0xbf5db3d7, v33
	v_mul_f32_e32 v65, -0.5, v63
	v_fmac_f32_e32 v54, 0xbf5db3d7, v43
	v_add_f32_e32 v43, v52, v83
	v_fma_f32 v66, -0.5, v45, v23
	v_fmac_f32_e32 v65, 0xbf5db3d7, v56
	v_add_f32_e32 v43, v53, v43
	v_sub_f32_e32 v52, v52, v53
	v_mov_b32_e32 v53, v66
	v_sub_f32_e32 v46, v4, v65
	v_fmac_f32_e32 v53, 0xbf5db3d7, v52
	v_fmac_f32_e32 v66, 0x3f5db3d7, v52
	v_add_f32_e32 v52, v4, v65
	v_mov_b32_e32 v4, 0xfffff8f8
	v_mad_u32_u24 v4, v59, 5, v4
	v_add_f32_e32 v14, v23, v14
	ds_read2_b32 v[69:70], v60 offset0:40 offset1:160
	ds_read2_b32 v[91:92], v61 offset0:88 offset1:208
	v_lshlrev_b64 v[60:61], 3, v[4:5]
	v_add_f32_e32 v14, v14, v16
	v_add_f32_e32 v16, v49, v51
	;; [unrolled: 1-line block ×3, first 2 shown]
	v_add_co_u32_e32 v4, vcc, s8, v60
	v_fmac_f32_e32 v47, 0x3f5db3d7, v33
	v_sub_f32_e32 v49, v14, v16
	v_add_f32_e32 v55, v14, v16
	v_addc_co_u32_e32 v14, vcc, v62, v61, vcc
	v_fmac_f32_e32 v31, 0xbf5db3d7, v48
	v_mul_f32_e32 v33, 0xbf5db3d7, v47
	v_add_co_u32_e32 v60, vcc, s0, v4
	v_fmac_f32_e32 v33, 0.5, v31
	v_mul_f32_e32 v67, -0.5, v56
	v_mul_f32_e32 v31, 0x3f5db3d7, v31
	v_addc_co_u32_e32 v61, vcc, 0, v14, vcc
	v_sub_f32_e32 v48, v54, v33
	v_fmac_f32_e32 v67, 0x3f5db3d7, v63
	v_fmac_f32_e32 v31, 0.5, v47
	v_add_f32_e32 v54, v54, v33
	v_sub_f32_e32 v45, v53, v67
	v_sub_f32_e32 v47, v66, v31
	v_add_f32_e32 v51, v53, v67
	s_waitcnt vmcnt(2) lgkmcnt(1)
	v_mul_f32_e32 v16, v75, v70
	v_mul_f32_e32 v33, v74, v70
	v_add_co_u32_e32 v70, vcc, s6, v4
	v_add_f32_e32 v53, v66, v31
	global_load_dwordx4 v[65:68], v[60:61], off offset:16
	v_fma_f32 v16, v21, v74, -v16
	s_waitcnt vmcnt(1) lgkmcnt(0)
	v_mul_f32_e32 v23, v79, v92
	v_fmac_f32_e32 v33, v21, v75
	v_mul_f32_e32 v21, v78, v92
	v_addc_co_u32_e32 v71, vcc, 0, v14, vcc
	v_sub_f32_e32 v50, v43, v35
	v_add_f32_e32 v56, v43, v35
	v_fma_f32 v31, v19, v78, -v23
	v_fmac_f32_e32 v21, v19, v79
	global_load_dwordx4 v[78:81], v[70:71], off offset:624
	v_mul_f32_e32 v14, v73, v84
	v_mul_f32_e32 v35, v77, v88
	;; [unrolled: 1-line block ×4, first 2 shown]
	v_fma_f32 v14, v30, v72, -v14
	v_fma_f32 v43, v34, v76, -v35
	v_mul_f32_e32 v35, v87, v90
	v_fmac_f32_e32 v70, v34, v77
	v_fmac_f32_e32 v75, v32, v87
	v_mul_f32_e32 v72, v72, v84
	v_fma_f32 v63, v32, v86, -v35
	v_fmac_f32_e32 v72, v30, v73
	v_add_f32_e32 v30, v70, v75
	v_add_f32_e32 v19, v33, v21
	;; [unrolled: 1-line block ×3, first 2 shown]
	v_fma_f32 v30, -0.5, v30, v72
	v_fma_f32 v19, -0.5, v19, v82
	;; [unrolled: 1-line block ×3, first 2 shown]
	global_load_dwordx2 v[34:35], v[60:61], off offset:32
	v_sub_f32_e32 v77, v43, v63
	v_mov_b32_e32 v60, v30
	v_sub_f32_e32 v23, v16, v31
	v_mov_b32_e32 v4, v19
	v_sub_f32_e32 v32, v70, v75
	v_mov_b32_e32 v76, v74
	v_fmac_f32_e32 v60, 0x3f5db3d7, v77
	v_fmac_f32_e32 v4, 0x3f5db3d7, v23
	v_fmac_f32_e32 v76, 0xbf5db3d7, v32
	v_mul_f32_e32 v61, -0.5, v60
	v_fmac_f32_e32 v19, 0xbf5db3d7, v23
	v_add_f32_e32 v23, v33, v82
	v_fmac_f32_e32 v61, 0xbf5db3d7, v76
	v_add_f32_e32 v82, v21, v23
	v_add_f32_e32 v23, v72, v70
	;; [unrolled: 1-line block ×3, first 2 shown]
	v_sub_f32_e32 v71, v4, v61
	v_fmac_f32_e32 v74, 0x3f5db3d7, v32
	v_add_f32_e32 v83, v23, v75
	v_fma_f32 v84, -0.5, v70, v22
	v_add_f32_e32 v75, v4, v61
	v_mul_u32_u24_e32 v4, 5, v0
	v_fmac_f32_e32 v30, 0xbf5db3d7, v77
	v_mul_f32_e32 v32, 0xbf5db3d7, v74
	v_sub_f32_e32 v21, v33, v21
	v_mov_b32_e32 v33, v84
	v_lshlrev_b32_e32 v4, 3, v4
	v_fmac_f32_e32 v32, 0.5, v30
	v_fmac_f32_e32 v33, 0xbf5db3d7, v21
	v_mul_f32_e32 v76, -0.5, v76
	v_fmac_f32_e32 v84, 0x3f5db3d7, v21
	v_mul_f32_e32 v21, 0x3f5db3d7, v30
	v_add_co_u32_e32 v4, vcc, s8, v4
	v_sub_f32_e32 v73, v19, v32
	v_fmac_f32_e32 v76, 0x3f5db3d7, v60
	v_fmac_f32_e32 v21, 0.5, v74
	v_add_f32_e32 v77, v19, v32
	v_addc_co_u32_e32 v19, vcc, 0, v62, vcc
	v_sub_f32_e32 v70, v33, v76
	v_sub_f32_e32 v72, v84, v21
	v_add_f32_e32 v74, v33, v76
	v_add_f32_e32 v76, v84, v21
	v_add_co_u32_e32 v84, vcc, s0, v4
	v_addc_co_u32_e32 v85, vcc, 0, v19, vcc
	v_add_co_u32_e32 v86, vcc, s6, v4
	v_add_f32_e32 v16, v22, v16
	v_add_f32_e32 v14, v14, v43
	v_addc_co_u32_e32 v87, vcc, 0, v19, vcc
	v_add_f32_e32 v16, v16, v31
	v_add_f32_e32 v14, v14, v63
	global_load_dwordx4 v[30:33], v[86:87], off offset:624
	global_load_dwordx2 v[88:89], v[84:85], off offset:32
	global_load_dwordx4 v[60:63], v[84:85], off offset:16
	v_sub_f32_e32 v23, v82, v83
	v_sub_f32_e32 v22, v16, v14
	v_add_f32_e32 v83, v82, v83
	v_add_f32_e32 v82, v16, v14
	s_waitcnt vmcnt(5)
	v_mul_f32_e32 v14, v68, v91
	v_fma_f32 v16, v18, v67, -v14
	v_mul_f32_e32 v67, v67, v91
	s_waitcnt vmcnt(4)
	v_mul_f32_e32 v4, v81, v69
	ds_read2_b32 v[84:85], v1 offset1:120
	v_mul_f32_e32 v1, v80, v69
	v_fmac_f32_e32 v67, v18, v68
	ds_read2_b32 v[18:19], v57 offset0:88 offset1:208
	v_fma_f32 v4, v20, v80, -v4
	v_fmac_f32_e32 v1, v20, v81
	ds_read2_b32 v[20:21], v64 offset0:8 offset1:128
	ds_read2_b32 v[57:58], v58 offset0:56 offset1:176
	v_add_f32_e32 v14, v1, v67
	s_waitcnt lgkmcnt(3)
	v_fma_f32 v68, -0.5, v14, v85
	s_waitcnt lgkmcnt(2)
	v_mul_f32_e32 v14, v79, v19
	v_fma_f32 v64, v9, v78, -v14
	s_waitcnt lgkmcnt(1)
	v_mul_f32_e32 v14, v66, v21
	v_mul_f32_e32 v21, v65, v21
	v_fma_f32 v80, v13, v65, -v14
	v_fmac_f32_e32 v21, v13, v66
	s_waitcnt vmcnt(3) lgkmcnt(0)
	v_mul_f32_e32 v13, v34, v58
	v_mul_f32_e32 v14, v35, v58
	v_fmac_f32_e32 v13, v11, v35
	v_mul_f32_e32 v19, v78, v19
	v_fma_f32 v81, v11, v34, -v14
	v_fmac_f32_e32 v19, v9, v79
	v_add_f32_e32 v9, v21, v13
	v_add_f32_e32 v14, v80, v81
	v_fma_f32 v9, -0.5, v9, v19
	v_fma_f32 v86, -0.5, v14, v64
	v_sub_f32_e32 v11, v21, v13
	v_sub_f32_e32 v35, v80, v81
	v_mov_b32_e32 v58, v9
	v_add_f32_e32 v19, v19, v21
	v_mov_b32_e32 v34, v86
	v_fmac_f32_e32 v58, 0x3f5db3d7, v35
	v_fmac_f32_e32 v86, 0x3f5db3d7, v11
	v_add_f32_e32 v19, v19, v13
	v_add_f32_e32 v13, v4, v16
	v_sub_f32_e32 v43, v4, v16
	v_mov_b32_e32 v69, v68
	v_fmac_f32_e32 v34, 0xbf5db3d7, v11
	v_mul_f32_e32 v66, -0.5, v58
	v_fmac_f32_e32 v9, 0xbf5db3d7, v35
	v_mul_f32_e32 v11, 0xbf5db3d7, v86
	v_fma_f32 v21, -0.5, v13, v7
	v_fmac_f32_e32 v69, 0x3f5db3d7, v43
	v_fmac_f32_e32 v66, 0xbf5db3d7, v34
	v_fmac_f32_e32 v68, 0xbf5db3d7, v43
	v_fmac_f32_e32 v11, 0.5, v9
	v_add_f32_e32 v43, v1, v85
	v_sub_f32_e32 v1, v1, v67
	v_mov_b32_e32 v78, v21
	v_mul_f32_e32 v85, -0.5, v34
	v_add_f32_e32 v4, v7, v4
	v_add_f32_e32 v7, v64, v80
	v_sub_f32_e32 v14, v69, v66
	v_sub_f32_e32 v35, v68, v11
	v_add_f32_e32 v43, v67, v43
	v_fmac_f32_e32 v78, 0xbf5db3d7, v1
	v_fmac_f32_e32 v85, 0x3f5db3d7, v58
	;; [unrolled: 1-line block ×3, first 2 shown]
	v_mul_f32_e32 v1, 0x3f5db3d7, v9
	v_add_f32_e32 v4, v4, v16
	v_add_f32_e32 v7, v7, v81
	;; [unrolled: 1-line block ×4, first 2 shown]
	v_sub_f32_e32 v13, v78, v85
	v_fmac_f32_e32 v1, 0.5, v86
	v_sub_f32_e32 v64, v4, v7
	v_add_f32_e32 v66, v78, v85
	v_add_f32_e32 v78, v4, v7
	v_sub_f32_e32 v34, v21, v1
	s_waitcnt vmcnt(2)
	v_mul_f32_e32 v9, v32, v44
	v_fmac_f32_e32 v9, v17, v33
	s_waitcnt vmcnt(0)
	v_mul_f32_e32 v11, v62, v42
	v_mul_f32_e32 v4, v63, v42
	v_fmac_f32_e32 v11, v15, v63
	v_add_f32_e32 v68, v21, v1
	v_mul_f32_e32 v1, v33, v44
	v_fma_f32 v4, v15, v62, -v4
	v_add_f32_e32 v15, v9, v11
	v_fma_f32 v1, v17, v32, -v1
	v_fma_f32 v15, -0.5, v15, v84
	v_sub_f32_e32 v65, v43, v19
	v_add_f32_e32 v79, v43, v19
	v_sub_f32_e32 v7, v1, v4
	v_mov_b32_e32 v16, v15
	v_mul_f32_e32 v17, v31, v18
	v_mul_f32_e32 v19, v61, v20
	;; [unrolled: 1-line block ×4, first 2 shown]
	v_fmac_f32_e32 v16, 0x3f5db3d7, v7
	v_fma_f32 v19, v12, v60, -v19
	v_fmac_f32_e32 v20, v12, v61
	v_mul_f32_e32 v12, v88, v57
	v_fmac_f32_e32 v18, v8, v31
	v_fmac_f32_e32 v15, 0xbf5db3d7, v7
	v_add_f32_e32 v7, v9, v84
	v_mul_f32_e32 v21, v89, v57
	v_fmac_f32_e32 v12, v10, v89
	v_add_f32_e32 v44, v11, v7
	v_add_f32_e32 v7, v18, v20
	v_fma_f32 v17, v8, v30, -v17
	v_fma_f32 v21, v10, v88, -v21
	v_sub_f32_e32 v10, v20, v12
	v_add_f32_e32 v8, v20, v12
	v_add_f32_e32 v20, v7, v12
	;; [unrolled: 1-line block ×8, first 2 shown]
	v_sub_f32_e32 v42, v19, v21
	v_sub_f32_e32 v9, v9, v11
	;; [unrolled: 1-line block ×3, first 2 shown]
	v_add_f32_e32 v19, v1, v4
	v_mov_b32_e32 v1, v5
	v_fma_f32 v32, -0.5, v32, v17
	v_fma_f32 v30, -0.5, v8, v18
	v_fma_f32 v57, -0.5, v7, v6
	v_mov_b32_e32 v4, s3
	v_add_co_u32_e32 v6, vcc, s2, v2
	v_lshlrev_b64 v[1:2], 3, v[0:1]
	v_mov_b32_e32 v33, v32
	v_mov_b32_e32 v31, v30
	v_fmac_f32_e32 v32, 0x3f5db3d7, v10
	v_addc_co_u32_e32 v21, vcc, v4, v3, vcc
	v_fmac_f32_e32 v31, 0x3f5db3d7, v42
	v_fmac_f32_e32 v30, 0xbf5db3d7, v42
	v_mul_f32_e32 v42, 0xbf5db3d7, v32
	v_add_co_u32_e32 v1, vcc, v6, v1
	v_fmac_f32_e32 v42, 0.5, v30
	v_sub_f32_e32 v12, v44, v20
	v_mul_f32_e32 v30, 0x3f5db3d7, v30
	v_add_f32_e32 v20, v44, v20
	v_addc_co_u32_e32 v2, vcc, v21, v2, vcc
	v_fmac_f32_e32 v33, 0xbf5db3d7, v10
	v_mul_f32_e32 v43, -0.5, v31
	v_mov_b32_e32 v58, v57
	v_fmac_f32_e32 v57, 0x3f5db3d7, v9
	v_fmac_f32_e32 v30, 0.5, v32
	global_store_dwordx2 v[1:2], v[19:20], off
	v_add_co_u32_e32 v19, vcc, s6, v1
	v_fmac_f32_e32 v43, 0xbf5db3d7, v33
	v_mul_f32_e32 v33, -0.5, v33
	v_add_f32_e32 v18, v15, v42
	v_add_f32_e32 v17, v57, v30
	v_addc_co_u32_e32 v20, vcc, 0, v2, vcc
	v_fmac_f32_e32 v58, 0xbf5db3d7, v9
	v_fmac_f32_e32 v33, 0x3f5db3d7, v31
	global_store_dwordx2 v[19:20], v[17:18], off offset:704
	v_add_co_u32_e32 v17, vcc, s5, v1
	v_sub_f32_e32 v8, v16, v43
	v_sub_f32_e32 v10, v15, v42
	v_add_f32_e32 v16, v16, v43
	v_add_f32_e32 v15, v58, v33
	v_addc_co_u32_e32 v18, vcc, 0, v2, vcc
	global_store_dwordx2 v[17:18], v[15:16], off offset:1408
	v_add_co_u32_e32 v15, vcc, s4, v1
	v_addc_co_u32_e32 v16, vcc, 0, v2, vcc
	s_movk_i32 s0, 0x4000
	global_store_dwordx2 v[15:16], v[11:12], off offset:2112
	v_add_co_u32_e32 v11, vcc, s0, v1
	v_sub_f32_e32 v9, v57, v30
	v_addc_co_u32_e32 v12, vcc, 0, v2, vcc
	v_or_b32_e32 v4, 0x780, v0
	global_store_dwordx2 v[11:12], v[9:10], off offset:2816
	v_add_co_u32_e32 v9, vcc, s1, v1
	v_lshlrev_b64 v[3:4], 3, v[4:5]
	v_addc_co_u32_e32 v10, vcc, 0, v2, vcc
	v_add_co_u32_e32 v3, vcc, v6, v3
	v_sub_f32_e32 v7, v58, v33
	v_addc_co_u32_e32 v4, vcc, v21, v4, vcc
	s_movk_i32 s1, 0x6000
	global_store_dwordx2 v[9:10], v[7:8], off offset:3520
	global_store_dwordx2 v[1:2], v[78:79], off offset:960
	;; [unrolled: 1-line block ×4, first 2 shown]
	global_store_dwordx2 v[3:4], v[64:65], off
	global_store_dwordx2 v[11:12], v[34:35], off offset:3776
	v_add_co_u32_e32 v3, vcc, s1, v1
	s_mov_b32 s1, 0x1b4e81b5
	v_mul_hi_u32 v0, v59, s1
	v_addc_co_u32_e32 v4, vcc, 0, v2, vcc
	global_store_dwordx2 v[3:4], v[13:14], off offset:384
	global_store_dwordx2 v[1:2], v[82:83], off offset:1920
	;; [unrolled: 1-line block ×10, first 2 shown]
	v_lshrrev_b32_e32 v0, 6, v0
	global_store_dwordx2 v[11:12], v[49:50], off offset:896
	global_store_dwordx2 v[9:10], v[47:48], off offset:1600
	;; [unrolled: 1-line block ×3, first 2 shown]
	v_mul_u32_u24_e32 v4, 0xbb8, v0
	v_lshlrev_b64 v[3:4], 3, v[4:5]
	v_add_co_u32_e32 v0, vcc, v1, v3
	v_addc_co_u32_e32 v1, vcc, v2, v4, vcc
	v_add_co_u32_e32 v2, vcc, s5, v0
	v_addc_co_u32_e32 v3, vcc, 0, v1, vcc
	global_store_dwordx2 v[2:3], v[38:39], off offset:448
	v_add_co_u32_e32 v2, vcc, s4, v0
	v_addc_co_u32_e32 v3, vcc, 0, v1, vcc
	global_store_dwordx2 v[2:3], v[36:37], off offset:1152
	;; [unrolled: 3-line block ×5, first 2 shown]
	global_store_dwordx2 v[0:1], v[24:25], off offset:3264
.LBB0_13:
	s_endpgm
	.section	.rodata,"a",@progbits
	.p2align	6, 0x0
	.amdhsa_kernel fft_rtc_fwd_len3600_factors_10_10_6_6_wgs_120_tpt_120_halfLds_sp_ip_CI_unitstride_sbrr_dirReg
		.amdhsa_group_segment_fixed_size 0
		.amdhsa_private_segment_fixed_size 0
		.amdhsa_kernarg_size 88
		.amdhsa_user_sgpr_count 6
		.amdhsa_user_sgpr_private_segment_buffer 1
		.amdhsa_user_sgpr_dispatch_ptr 0
		.amdhsa_user_sgpr_queue_ptr 0
		.amdhsa_user_sgpr_kernarg_segment_ptr 1
		.amdhsa_user_sgpr_dispatch_id 0
		.amdhsa_user_sgpr_flat_scratch_init 0
		.amdhsa_user_sgpr_private_segment_size 0
		.amdhsa_uses_dynamic_stack 0
		.amdhsa_system_sgpr_private_segment_wavefront_offset 0
		.amdhsa_system_sgpr_workgroup_id_x 1
		.amdhsa_system_sgpr_workgroup_id_y 0
		.amdhsa_system_sgpr_workgroup_id_z 0
		.amdhsa_system_sgpr_workgroup_info 0
		.amdhsa_system_vgpr_workitem_id 0
		.amdhsa_next_free_vgpr 129
		.amdhsa_next_free_sgpr 22
		.amdhsa_reserve_vcc 1
		.amdhsa_reserve_flat_scratch 0
		.amdhsa_float_round_mode_32 0
		.amdhsa_float_round_mode_16_64 0
		.amdhsa_float_denorm_mode_32 3
		.amdhsa_float_denorm_mode_16_64 3
		.amdhsa_dx10_clamp 1
		.amdhsa_ieee_mode 1
		.amdhsa_fp16_overflow 0
		.amdhsa_exception_fp_ieee_invalid_op 0
		.amdhsa_exception_fp_denorm_src 0
		.amdhsa_exception_fp_ieee_div_zero 0
		.amdhsa_exception_fp_ieee_overflow 0
		.amdhsa_exception_fp_ieee_underflow 0
		.amdhsa_exception_fp_ieee_inexact 0
		.amdhsa_exception_int_div_zero 0
	.end_amdhsa_kernel
	.text
.Lfunc_end0:
	.size	fft_rtc_fwd_len3600_factors_10_10_6_6_wgs_120_tpt_120_halfLds_sp_ip_CI_unitstride_sbrr_dirReg, .Lfunc_end0-fft_rtc_fwd_len3600_factors_10_10_6_6_wgs_120_tpt_120_halfLds_sp_ip_CI_unitstride_sbrr_dirReg
                                        ; -- End function
	.section	.AMDGPU.csdata,"",@progbits
; Kernel info:
; codeLenInByte = 14728
; NumSgprs: 26
; NumVgprs: 129
; ScratchSize: 0
; MemoryBound: 0
; FloatMode: 240
; IeeeMode: 1
; LDSByteSize: 0 bytes/workgroup (compile time only)
; SGPRBlocks: 3
; VGPRBlocks: 32
; NumSGPRsForWavesPerEU: 26
; NumVGPRsForWavesPerEU: 129
; Occupancy: 1
; WaveLimiterHint : 1
; COMPUTE_PGM_RSRC2:SCRATCH_EN: 0
; COMPUTE_PGM_RSRC2:USER_SGPR: 6
; COMPUTE_PGM_RSRC2:TRAP_HANDLER: 0
; COMPUTE_PGM_RSRC2:TGID_X_EN: 1
; COMPUTE_PGM_RSRC2:TGID_Y_EN: 0
; COMPUTE_PGM_RSRC2:TGID_Z_EN: 0
; COMPUTE_PGM_RSRC2:TIDIG_COMP_CNT: 0
	.type	__hip_cuid_72315f86e5494f55,@object ; @__hip_cuid_72315f86e5494f55
	.section	.bss,"aw",@nobits
	.globl	__hip_cuid_72315f86e5494f55
__hip_cuid_72315f86e5494f55:
	.byte	0                               ; 0x0
	.size	__hip_cuid_72315f86e5494f55, 1

	.ident	"AMD clang version 19.0.0git (https://github.com/RadeonOpenCompute/llvm-project roc-6.4.0 25133 c7fe45cf4b819c5991fe208aaa96edf142730f1d)"
	.section	".note.GNU-stack","",@progbits
	.addrsig
	.addrsig_sym __hip_cuid_72315f86e5494f55
	.amdgpu_metadata
---
amdhsa.kernels:
  - .args:
      - .actual_access:  read_only
        .address_space:  global
        .offset:         0
        .size:           8
        .value_kind:     global_buffer
      - .offset:         8
        .size:           8
        .value_kind:     by_value
      - .actual_access:  read_only
        .address_space:  global
        .offset:         16
        .size:           8
        .value_kind:     global_buffer
      - .actual_access:  read_only
        .address_space:  global
        .offset:         24
        .size:           8
        .value_kind:     global_buffer
      - .offset:         32
        .size:           8
        .value_kind:     by_value
      - .actual_access:  read_only
        .address_space:  global
        .offset:         40
        .size:           8
        .value_kind:     global_buffer
      - .actual_access:  read_only
        .address_space:  global
        .offset:         48
        .size:           8
        .value_kind:     global_buffer
      - .offset:         56
        .size:           4
        .value_kind:     by_value
      - .actual_access:  read_only
        .address_space:  global
        .offset:         64
        .size:           8
        .value_kind:     global_buffer
      - .actual_access:  read_only
        .address_space:  global
        .offset:         72
        .size:           8
        .value_kind:     global_buffer
      - .address_space:  global
        .offset:         80
        .size:           8
        .value_kind:     global_buffer
    .group_segment_fixed_size: 0
    .kernarg_segment_align: 8
    .kernarg_segment_size: 88
    .language:       OpenCL C
    .language_version:
      - 2
      - 0
    .max_flat_workgroup_size: 120
    .name:           fft_rtc_fwd_len3600_factors_10_10_6_6_wgs_120_tpt_120_halfLds_sp_ip_CI_unitstride_sbrr_dirReg
    .private_segment_fixed_size: 0
    .sgpr_count:     26
    .sgpr_spill_count: 0
    .symbol:         fft_rtc_fwd_len3600_factors_10_10_6_6_wgs_120_tpt_120_halfLds_sp_ip_CI_unitstride_sbrr_dirReg.kd
    .uniform_work_group_size: 1
    .uses_dynamic_stack: false
    .vgpr_count:     129
    .vgpr_spill_count: 0
    .wavefront_size: 64
amdhsa.target:   amdgcn-amd-amdhsa--gfx906
amdhsa.version:
  - 1
  - 2
...

	.end_amdgpu_metadata
